;; amdgpu-corpus repo=ROCm/rocFFT kind=compiled arch=gfx1030 opt=O3
	.text
	.amdgcn_target "amdgcn-amd-amdhsa--gfx1030"
	.amdhsa_code_object_version 6
	.protected	bluestein_single_fwd_len121_dim1_dp_op_CI_CI ; -- Begin function bluestein_single_fwd_len121_dim1_dp_op_CI_CI
	.globl	bluestein_single_fwd_len121_dim1_dp_op_CI_CI
	.p2align	8
	.type	bluestein_single_fwd_len121_dim1_dp_op_CI_CI,@function
bluestein_single_fwd_len121_dim1_dp_op_CI_CI: ; @bluestein_single_fwd_len121_dim1_dp_op_CI_CI
; %bb.0:
	s_load_dwordx4 s[12:15], s[4:5], 0x28
	v_mul_u32_u24_e32 v1, 0x1746, v0
	s_mov_b32 s0, exec_lo
	v_lshrrev_b32_e32 v1, 16, v1
	v_mad_u64_u32 v[100:101], null, s6, 11, v[1:2]
	v_mov_b32_e32 v101, 0
	s_waitcnt lgkmcnt(0)
	v_cmpx_gt_u64_e64 s[12:13], v[100:101]
	s_cbranch_execz .LBB0_2
; %bb.1:
	s_clause 0x1
	s_load_dwordx4 s[0:3], s[4:5], 0x18
	s_load_dwordx4 s[8:11], s[4:5], 0x0
	v_mul_lo_u16 v1, v1, 11
	s_mov_b32 s24, 0xf8bb580b
	s_mov_b32 s20, 0x8eee2c13
	;; [unrolled: 1-line block ×4, first 2 shown]
	v_sub_nc_u16 v82, v0, v1
	s_mov_b32 s25, 0xbfe14ced
	s_mov_b32 s21, 0xbfed1bb4
	;; [unrolled: 1-line block ×4, first 2 shown]
	v_and_b32_e32 v157, 0xffff, v82
	s_mov_b32 s22, 0x7f775887
	s_mov_b32 s28, 0x9bcd5057
	;; [unrolled: 1-line block ×4, first 2 shown]
	v_lshlrev_b32_e32 v159, 4, v157
	s_mov_b32 s37, 0x3fd207e7
	s_mov_b32 s36, s26
	s_waitcnt lgkmcnt(0)
	s_load_dwordx4 s[16:19], s[0:1], 0x0
	s_add_u32 s40, s8, 0x790
	s_addc_u32 s41, s9, 0
	s_mov_b32 s31, 0x3fefac9e
	s_mov_b32 s35, 0x3fe14ced
	;; [unrolled: 1-line block ×5, first 2 shown]
	s_load_dwordx2 s[4:5], s[4:5], 0x38
	s_waitcnt lgkmcnt(0)
	v_mad_u64_u32 v[0:1], null, s18, v100, 0
	v_mad_u64_u32 v[2:3], null, s16, v157, 0
	s_mul_i32 s0, s17, 0xb0
	s_mul_hi_u32 s6, s16, 0xb0
	s_mul_i32 s1, s16, 0xb0
	s_add_i32 s0, s6, s0
	s_mov_b32 s6, 0x43842ef
	s_mov_b32 s7, 0xbfefac9e
	v_mad_u64_u32 v[4:5], null, s19, v100, v[1:2]
	s_mov_b32 s18, 0x8764f0ba
	s_mov_b32 s19, 0x3feaeb8c
	;; [unrolled: 1-line block ×3, first 2 shown]
	v_mad_u64_u32 v[5:6], null, s17, v157, v[3:4]
	v_mov_b32_e32 v1, v4
	s_mov_b32 s16, 0xd9c712b6
	s_mov_b32 s17, 0x3fda9628
	v_lshlrev_b64 v[0:1], 4, v[0:1]
	v_mov_b32_e32 v3, v5
	v_add_co_u32 v0, vcc_lo, s14, v0
	v_lshlrev_b64 v[2:3], 4, v[2:3]
	v_add_co_ci_u32_e32 v1, vcc_lo, s15, v1, vcc_lo
	s_mov_b32 s14, 0x640f44db
	s_mov_b32 s15, 0xbfc2375f
	v_add_co_u32 v4, vcc_lo, v0, v2
	v_add_co_ci_u32_e32 v5, vcc_lo, v1, v3, vcc_lo
	v_add_co_u32 v8, vcc_lo, v4, s1
	v_add_co_ci_u32_e32 v9, vcc_lo, s0, v5, vcc_lo
	global_load_dwordx4 v[0:3], v[4:5], off
	s_clause 0x1
	global_load_dwordx4 v[40:43], v159, s[8:9]
	global_load_dwordx4 v[16:19], v159, s[8:9] offset:176
	global_load_dwordx4 v[4:7], v[8:9], off
	v_add_co_u32 v8, vcc_lo, v8, s1
	v_add_co_ci_u32_e32 v9, vcc_lo, s0, v9, vcc_lo
	v_add_co_u32 v12, vcc_lo, v8, s1
	v_add_co_ci_u32_e32 v13, vcc_lo, s0, v9, vcc_lo
	global_load_dwordx4 v[20:23], v[8:9], off
	s_clause 0x1
	global_load_dwordx4 v[32:35], v159, s[8:9] offset:352
	global_load_dwordx4 v[8:11], v159, s[8:9] offset:528
	global_load_dwordx4 v[24:27], v[12:13], off
	v_add_co_u32 v36, vcc_lo, v12, s1
	v_add_co_ci_u32_e32 v37, vcc_lo, s0, v13, vcc_lo
	global_load_dwordx4 v[28:31], v[36:37], off
	global_load_dwordx4 v[12:15], v159, s[8:9] offset:704
	s_waitcnt vmcnt(8)
	v_mul_f64 v[38:39], v[2:3], v[42:43]
	v_mul_f64 v[46:47], v[0:1], v[42:43]
	s_waitcnt vmcnt(6)
	v_mul_f64 v[48:49], v[6:7], v[18:19]
	v_mul_f64 v[50:51], v[4:5], v[18:19]
	s_waitcnt vmcnt(4)
	v_mul_f64 v[52:53], v[22:23], v[34:35]
	v_fma_f64 v[44:45], v[0:1], v[40:41], v[38:39]
	v_fma_f64 v[46:47], v[2:3], v[40:41], -v[46:47]
	v_mul_f64 v[0:1], v[20:21], v[34:35]
	s_waitcnt vmcnt(2)
	v_mul_f64 v[2:3], v[26:27], v[10:11]
	v_fma_f64 v[48:49], v[4:5], v[16:17], v[48:49]
	v_mul_f64 v[4:5], v[24:25], v[10:11]
	v_fma_f64 v[50:51], v[6:7], v[16:17], -v[50:51]
	v_fma_f64 v[52:53], v[20:21], v[32:33], v[52:53]
	v_fma_f64 v[54:55], v[22:23], v[32:33], -v[0:1]
	s_waitcnt vmcnt(0)
	v_mul_f64 v[0:1], v[30:31], v[14:15]
	v_fma_f64 v[56:57], v[24:25], v[8:9], v[2:3]
	v_mul_f64 v[2:3], v[28:29], v[14:15]
	v_fma_f64 v[58:59], v[26:27], v[8:9], -v[4:5]
	v_add_co_u32 v4, vcc_lo, v36, s1
	v_add_co_ci_u32_e32 v5, vcc_lo, s0, v37, vcc_lo
	global_load_dwordx4 v[20:23], v159, s[8:9] offset:880
	v_fma_f64 v[60:61], v[28:29], v[12:13], v[0:1]
	v_fma_f64 v[62:63], v[30:31], v[12:13], -v[2:3]
	global_load_dwordx4 v[0:3], v[4:5], off
	v_add_co_u32 v4, vcc_lo, v4, s1
	v_add_co_ci_u32_e32 v5, vcc_lo, s0, v5, vcc_lo
	s_waitcnt vmcnt(0)
	v_mul_f64 v[6:7], v[2:3], v[22:23]
	v_mul_f64 v[24:25], v[0:1], v[22:23]
	v_fma_f64 v[64:65], v[0:1], v[20:21], v[6:7]
	v_fma_f64 v[66:67], v[2:3], v[20:21], -v[24:25]
	global_load_dwordx4 v[0:3], v[4:5], off
	s_clause 0x1
	global_load_dwordx4 v[24:27], v159, s[8:9] offset:1056
	global_load_dwordx4 v[28:31], v159, s[8:9] offset:1232
	v_add_co_u32 v4, vcc_lo, v4, s1
	v_add_co_ci_u32_e32 v5, vcc_lo, s0, v5, vcc_lo
	v_add_co_u32 v80, vcc_lo, v4, s1
	v_add_co_ci_u32_e32 v81, vcc_lo, s0, v5, vcc_lo
	s_waitcnt vmcnt(1)
	v_mul_f64 v[6:7], v[2:3], v[26:27]
	v_mul_f64 v[36:37], v[0:1], v[26:27]
	v_fma_f64 v[68:69], v[0:1], v[24:25], v[6:7]
	v_fma_f64 v[70:71], v[2:3], v[24:25], -v[36:37]
	global_load_dwordx4 v[0:3], v[4:5], off
	s_waitcnt vmcnt(0)
	v_mul_f64 v[6:7], v[2:3], v[30:31]
	v_mul_f64 v[36:37], v[0:1], v[30:31]
	v_fma_f64 v[72:73], v[0:1], v[28:29], v[6:7]
	v_fma_f64 v[74:75], v[2:3], v[28:29], -v[36:37]
	global_load_dwordx4 v[4:7], v[80:81], off
	s_clause 0x1
	global_load_dwordx4 v[36:39], v159, s[8:9] offset:1408
	global_load_dwordx4 v[0:3], v159, s[8:9] offset:1584
	v_add_co_u32 v80, vcc_lo, v80, s1
	v_add_co_ci_u32_e32 v81, vcc_lo, s0, v81, vcc_lo
	s_waitcnt vmcnt(1)
	v_mul_f64 v[76:77], v[6:7], v[38:39]
	v_mul_f64 v[78:79], v[4:5], v[38:39]
	v_fma_f64 v[76:77], v[4:5], v[36:37], v[76:77]
	v_fma_f64 v[78:79], v[6:7], v[36:37], -v[78:79]
	global_load_dwordx4 v[4:7], v[80:81], off
	s_waitcnt vmcnt(0)
	v_mul_f64 v[83:84], v[6:7], v[2:3]
	v_mul_f64 v[86:87], v[4:5], v[2:3]
	v_fma_f64 v[84:85], v[4:5], v[0:1], v[83:84]
	v_add_co_u32 v4, vcc_lo, v80, s1
	v_add_co_ci_u32_e32 v5, vcc_lo, s0, v81, vcc_lo
	v_fma_f64 v[86:87], v[6:7], v[0:1], -v[86:87]
	global_load_dwordx4 v[88:91], v[4:5], off
	global_load_dwordx4 v[4:7], v159, s[8:9] offset:1760
	s_waitcnt vmcnt(0)
	v_mul_f64 v[80:81], v[90:91], v[6:7]
	v_mul_f64 v[92:93], v[88:89], v[6:7]
	v_fma_f64 v[88:89], v[88:89], v[4:5], v[80:81]
	v_mul_hi_u32 v80, 0xba2e8ba3, v100
	v_fma_f64 v[90:91], v[90:91], v[4:5], -v[92:93]
	v_lshrrev_b32_e32 v80, 3, v80
	v_mul_lo_u32 v80, v80, 11
	v_sub_nc_u32_e32 v80, v100, v80
	v_mul_u32_u24_e32 v80, 0x79, v80
	v_lshlrev_b32_e32 v83, 4, v80
	v_add_nc_u32_e32 v158, v159, v83
	ds_write_b128 v158, v[44:47]
	ds_write_b128 v158, v[48:51] offset:176
	ds_write_b128 v158, v[52:55] offset:352
	;; [unrolled: 1-line block ×8, first 2 shown]
	s_load_dwordx4 s[0:3], s[2:3], 0x0
	ds_write_b128 v158, v[84:87] offset:1584
	ds_write_b128 v158, v[88:91] offset:1760
	s_waitcnt lgkmcnt(0)
	s_barrier
	buffer_gl0_inv
	ds_read_b128 v[48:51], v158
	ds_read_b128 v[44:47], v158 offset:176
	ds_read_b128 v[52:55], v158 offset:352
	;; [unrolled: 1-line block ×3, first 2 shown]
	s_waitcnt lgkmcnt(2)
	v_add_f64 v[60:61], v[48:49], v[44:45]
	v_add_f64 v[62:63], v[50:51], v[46:47]
	s_waitcnt lgkmcnt(1)
	v_add_f64 v[60:61], v[60:61], v[52:53]
	v_add_f64 v[62:63], v[62:63], v[54:55]
	;; [unrolled: 3-line block ×3, first 2 shown]
	ds_read_b128 v[60:63], v158 offset:704
	ds_read_b128 v[64:67], v158 offset:880
	s_waitcnt lgkmcnt(1)
	v_add_f64 v[68:69], v[68:69], v[60:61]
	v_add_f64 v[70:71], v[70:71], v[62:63]
	s_waitcnt lgkmcnt(0)
	v_add_f64 v[76:77], v[68:69], v[64:65]
	v_add_f64 v[78:79], v[70:71], v[66:67]
	ds_read_b128 v[68:71], v158 offset:1056
	ds_read_b128 v[84:87], v158 offset:1232
	s_waitcnt lgkmcnt(1)
	v_add_f64 v[72:73], v[64:65], v[68:69]
	v_add_f64 v[74:75], v[66:67], v[70:71]
	v_add_f64 v[80:81], v[64:65], -v[68:69]
	v_add_f64 v[96:97], v[66:67], -v[70:71]
	v_add_f64 v[68:69], v[76:77], v[68:69]
	v_add_f64 v[70:71], v[78:79], v[70:71]
	s_waitcnt lgkmcnt(0)
	v_add_f64 v[64:65], v[60:61], v[84:85]
	v_add_f64 v[66:67], v[62:63], v[86:87]
	v_add_f64 v[98:99], v[60:61], -v[84:85]
	v_add_f64 v[101:102], v[62:63], -v[86:87]
	v_add_f64 v[84:85], v[68:69], v[84:85]
	v_add_f64 v[86:87], v[70:71], v[86:87]
	ds_read_b128 v[68:71], v158 offset:1408
	ds_read_b128 v[76:79], v158 offset:1584
	s_waitcnt lgkmcnt(1)
	v_add_f64 v[60:61], v[56:57], v[68:69]
	v_add_f64 v[62:63], v[58:59], v[70:71]
	v_add_f64 v[103:104], v[56:57], -v[68:69]
	v_add_f64 v[105:106], v[58:59], -v[70:71]
	v_add_f64 v[68:69], v[84:85], v[68:69]
	v_add_f64 v[70:71], v[86:87], v[70:71]
	s_waitcnt lgkmcnt(0)
	v_add_f64 v[56:57], v[52:53], v[76:77]
	v_add_f64 v[58:59], v[54:55], v[78:79]
	v_add_f64 v[107:108], v[52:53], -v[76:77]
	v_add_f64 v[109:110], v[54:55], -v[78:79]
	ds_read_b128 v[52:55], v158 offset:1760
	s_waitcnt lgkmcnt(0)
	s_barrier
	buffer_gl0_inv
	v_add_f64 v[68:69], v[68:69], v[76:77]
	v_add_f64 v[70:71], v[70:71], v[78:79]
	v_add_f64 v[76:77], v[46:47], -v[54:55]
	v_add_f64 v[78:79], v[44:45], v[52:53]
	v_add_f64 v[84:85], v[46:47], v[54:55]
	v_add_f64 v[86:87], v[44:45], -v[52:53]
	v_add_f64 v[44:45], v[68:69], v[52:53]
	v_add_f64 v[46:47], v[70:71], v[54:55]
	v_mul_f64 v[52:53], v[76:77], s[24:25]
	v_mul_f64 v[54:55], v[76:77], s[20:21]
	;; [unrolled: 1-line block ×8, first 2 shown]
	v_fma_f64 v[88:89], v[78:79], s[18:19], -v[52:53]
	v_fma_f64 v[52:53], v[78:79], s[18:19], v[52:53]
	v_fma_f64 v[90:91], v[78:79], s[16:17], -v[54:55]
	v_fma_f64 v[54:55], v[78:79], s[16:17], v[54:55]
	;; [unrolled: 2-line block ×5, first 2 shown]
	v_mul_f64 v[78:79], v[86:87], s[24:25]
	v_mul_f64 v[86:87], v[86:87], s[26:27]
	v_fma_f64 v[121:122], v[84:85], s[16:17], v[113:114]
	v_fma_f64 v[113:114], v[84:85], s[16:17], -v[113:114]
	v_fma_f64 v[123:124], v[84:85], s[14:15], v[115:116]
	v_fma_f64 v[115:116], v[84:85], s[14:15], -v[115:116]
	;; [unrolled: 2-line block ×3, first 2 shown]
	v_add_f64 v[90:91], v[48:49], v[90:91]
	v_add_f64 v[129:130], v[48:49], v[54:55]
	;; [unrolled: 1-line block ×8, first 2 shown]
	v_fma_f64 v[119:120], v[84:85], s[18:19], v[78:79]
	v_fma_f64 v[78:79], v[84:85], s[18:19], -v[78:79]
	v_fma_f64 v[127:128], v[84:85], s[28:29], v[86:87]
	v_fma_f64 v[84:85], v[84:85], s[28:29], -v[86:87]
	v_add_f64 v[86:87], v[48:49], v[88:89]
	v_add_f64 v[121:122], v[50:51], v[121:122]
	;; [unrolled: 1-line block ×7, first 2 shown]
	v_mul_f64 v[68:69], v[107:108], s[20:21]
	v_mul_f64 v[70:71], v[105:106], s[6:7]
	;; [unrolled: 1-line block ×3, first 2 shown]
	v_add_f64 v[88:89], v[50:51], v[119:120]
	v_add_f64 v[119:120], v[48:49], v[52:53]
	v_mul_f64 v[48:49], v[109:110], s[20:21]
	v_add_f64 v[78:79], v[50:51], v[78:79]
	v_add_f64 v[127:128], v[50:51], v[127:128]
	;; [unrolled: 1-line block ×3, first 2 shown]
	v_mul_f64 v[84:85], v[101:102], s[12:13]
	v_fma_f64 v[52:53], v[58:59], s[16:17], v[68:69]
	v_fma_f64 v[54:55], v[60:61], s[14:15], -v[70:71]
	v_fma_f64 v[68:69], v[58:59], s[16:17], -v[68:69]
	v_fma_f64 v[70:71], v[60:61], s[14:15], v[70:71]
	v_fma_f64 v[50:51], v[56:57], s[16:17], -v[48:49]
	v_fma_f64 v[48:49], v[56:57], s[16:17], v[48:49]
	v_add_f64 v[52:53], v[52:53], v[88:89]
	v_mul_f64 v[88:89], v[96:97], s[26:27]
	v_add_f64 v[68:69], v[68:69], v[78:79]
	v_mul_f64 v[78:79], v[107:108], s[12:13]
	;; [unrolled: 2-line block ×3, first 2 shown]
	v_add_f64 v[48:49], v[48:49], v[119:120]
	v_add_f64 v[50:51], v[54:55], v[50:51]
	v_fma_f64 v[54:55], v[62:63], s[14:15], v[76:77]
	v_add_f64 v[48:49], v[70:71], v[48:49]
	v_fma_f64 v[70:71], v[62:63], s[14:15], -v[76:77]
	v_mul_f64 v[76:77], v[109:110], s[12:13]
	v_add_f64 v[52:53], v[54:55], v[52:53]
	v_fma_f64 v[54:55], v[64:65], s[22:23], -v[84:85]
	v_add_f64 v[68:69], v[70:71], v[68:69]
	v_fma_f64 v[70:71], v[64:65], s[22:23], v[84:85]
	v_mul_f64 v[84:85], v[105:106], s[36:37]
	v_add_f64 v[50:51], v[54:55], v[50:51]
	v_fma_f64 v[54:55], v[66:67], s[22:23], v[86:87]
	v_add_f64 v[48:49], v[70:71], v[48:49]
	v_fma_f64 v[70:71], v[66:67], s[22:23], -v[86:87]
	v_fma_f64 v[86:87], v[60:61], s[28:29], -v[84:85]
	v_fma_f64 v[84:85], v[60:61], s[28:29], v[84:85]
	v_add_f64 v[54:55], v[54:55], v[52:53]
	v_fma_f64 v[52:53], v[72:73], s[28:29], -v[88:89]
	v_add_f64 v[68:69], v[70:71], v[68:69]
	v_fma_f64 v[70:71], v[72:73], s[28:29], v[88:89]
	v_add_f64 v[52:53], v[52:53], v[50:51]
	v_mul_f64 v[50:51], v[80:81], s[26:27]
	v_add_f64 v[48:49], v[70:71], v[48:49]
	v_fma_f64 v[70:71], v[58:59], s[22:23], v[78:79]
	v_fma_f64 v[78:79], v[58:59], s[22:23], -v[78:79]
	v_fma_f64 v[139:140], v[74:75], s[28:29], v[50:51]
	v_fma_f64 v[50:51], v[74:75], s[28:29], -v[50:51]
	v_add_f64 v[70:71], v[70:71], v[121:122]
	v_add_f64 v[78:79], v[78:79], v[113:114]
	;; [unrolled: 1-line block ×4, first 2 shown]
	v_fma_f64 v[68:69], v[56:57], s[22:23], -v[76:77]
	v_fma_f64 v[76:77], v[56:57], s[22:23], v[76:77]
	v_add_f64 v[68:69], v[68:69], v[90:91]
	v_add_f64 v[76:77], v[76:77], v[129:130]
	;; [unrolled: 1-line block ×3, first 2 shown]
	v_mul_f64 v[86:87], v[103:104], s[36:37]
	v_add_f64 v[76:77], v[84:85], v[76:77]
	v_fma_f64 v[88:89], v[62:63], s[28:29], v[86:87]
	v_fma_f64 v[84:85], v[62:63], s[28:29], -v[86:87]
	v_add_f64 v[70:71], v[88:89], v[70:71]
	v_mul_f64 v[88:89], v[101:102], s[30:31]
	v_add_f64 v[78:79], v[84:85], v[78:79]
	v_fma_f64 v[90:91], v[64:65], s[14:15], -v[88:89]
	v_fma_f64 v[84:85], v[64:65], s[14:15], v[88:89]
	v_mul_f64 v[88:89], v[109:110], s[36:37]
	v_add_f64 v[68:69], v[90:91], v[68:69]
	v_mul_f64 v[90:91], v[98:99], s[30:31]
	v_add_f64 v[76:77], v[84:85], v[76:77]
	v_fma_f64 v[119:120], v[66:67], s[14:15], v[90:91]
	v_fma_f64 v[84:85], v[66:67], s[14:15], -v[90:91]
	v_mul_f64 v[90:91], v[107:108], s[36:37]
	v_add_f64 v[70:71], v[119:120], v[70:71]
	v_mul_f64 v[119:120], v[96:97], s[34:35]
	v_add_f64 v[78:79], v[84:85], v[78:79]
	v_fma_f64 v[84:85], v[72:73], s[18:19], v[119:120]
	v_fma_f64 v[121:122], v[72:73], s[18:19], -v[119:120]
	v_add_f64 v[76:77], v[84:85], v[76:77]
	v_fma_f64 v[84:85], v[56:57], s[28:29], -v[88:89]
	v_add_f64 v[68:69], v[121:122], v[68:69]
	v_mul_f64 v[121:122], v[80:81], s[34:35]
	v_fma_f64 v[88:89], v[56:57], s[28:29], v[88:89]
	v_add_f64 v[84:85], v[84:85], v[92:93]
	v_mul_f64 v[92:93], v[105:106], s[38:39]
	v_fma_f64 v[86:87], v[74:75], s[18:19], -v[121:122]
	v_fma_f64 v[139:140], v[74:75], s[18:19], v[121:122]
	v_add_f64 v[88:89], v[88:89], v[131:132]
	v_fma_f64 v[113:114], v[60:61], s[16:17], -v[92:93]
	v_add_f64 v[78:79], v[86:87], v[78:79]
	v_fma_f64 v[86:87], v[58:59], s[28:29], v[90:91]
	v_fma_f64 v[90:91], v[58:59], s[28:29], -v[90:91]
	v_fma_f64 v[92:93], v[60:61], s[16:17], v[92:93]
	v_add_f64 v[70:71], v[139:140], v[70:71]
	v_add_f64 v[84:85], v[113:114], v[84:85]
	v_mul_f64 v[113:114], v[103:104], s[38:39]
	v_add_f64 v[86:87], v[86:87], v[123:124]
	v_add_f64 v[90:91], v[90:91], v[115:116]
	;; [unrolled: 1-line block ×3, first 2 shown]
	v_mul_f64 v[115:116], v[107:108], s[30:31]
	v_mul_f64 v[107:108], v[107:108], s[34:35]
	v_fma_f64 v[119:120], v[62:63], s[16:17], v[113:114]
	v_fma_f64 v[92:93], v[62:63], s[16:17], -v[113:114]
	v_add_f64 v[86:87], v[119:120], v[86:87]
	v_mul_f64 v[119:120], v[101:102], s[24:25]
	v_add_f64 v[90:91], v[92:93], v[90:91]
	v_fma_f64 v[121:122], v[64:65], s[18:19], -v[119:120]
	v_fma_f64 v[92:93], v[64:65], s[18:19], v[119:120]
	v_mul_f64 v[119:120], v[105:106], s[24:25]
	v_mul_f64 v[105:106], v[105:106], s[12:13]
	v_add_f64 v[84:85], v[121:122], v[84:85]
	v_mul_f64 v[121:122], v[98:99], s[24:25]
	v_add_f64 v[88:89], v[92:93], v[88:89]
	v_fma_f64 v[123:124], v[66:67], s[18:19], v[121:122]
	v_fma_f64 v[92:93], v[66:67], s[18:19], -v[121:122]
	v_fma_f64 v[121:122], v[60:61], s[18:19], -v[119:120]
	v_add_f64 v[86:87], v[123:124], v[86:87]
	v_mul_f64 v[123:124], v[96:97], s[12:13]
	v_add_f64 v[90:91], v[92:93], v[90:91]
	v_fma_f64 v[129:130], v[72:73], s[22:23], -v[123:124]
	v_fma_f64 v[92:93], v[72:73], s[22:23], v[123:124]
	v_add_f64 v[84:85], v[129:130], v[84:85]
	v_mul_f64 v[129:130], v[80:81], s[12:13]
	v_add_f64 v[88:89], v[92:93], v[88:89]
	v_fma_f64 v[113:114], v[74:75], s[22:23], -v[129:130]
	v_fma_f64 v[139:140], v[74:75], s[22:23], v[129:130]
	v_add_f64 v[90:91], v[113:114], v[90:91]
	v_mul_f64 v[113:114], v[109:110], s[30:31]
	v_add_f64 v[86:87], v[139:140], v[86:87]
	v_mul_f64 v[109:110], v[109:110], s[34:35]
	v_fma_f64 v[92:93], v[56:57], s[14:15], -v[113:114]
	v_add_f64 v[92:93], v[92:93], v[94:95]
	v_fma_f64 v[94:95], v[58:59], s[14:15], v[115:116]
	v_add_f64 v[92:93], v[121:122], v[92:93]
	v_mul_f64 v[121:122], v[103:104], s[24:25]
	v_add_f64 v[94:95], v[94:95], v[125:126]
	v_mul_f64 v[103:104], v[103:104], s[12:13]
	v_fma_f64 v[123:124], v[62:63], s[18:19], v[121:122]
	v_add_f64 v[94:95], v[123:124], v[94:95]
	v_mul_f64 v[123:124], v[101:102], s[26:27]
	v_mul_f64 v[101:102], v[101:102], s[38:39]
	v_fma_f64 v[125:126], v[64:65], s[28:29], -v[123:124]
	v_add_f64 v[92:93], v[125:126], v[92:93]
	v_mul_f64 v[125:126], v[98:99], s[26:27]
	v_fma_f64 v[129:130], v[66:67], s[28:29], v[125:126]
	v_add_f64 v[94:95], v[129:130], v[94:95]
	v_mul_f64 v[129:130], v[96:97], s[38:39]
	v_fma_f64 v[131:132], v[72:73], s[16:17], -v[129:130]
	v_add_f64 v[92:93], v[131:132], v[92:93]
	v_mul_f64 v[131:132], v[80:81], s[38:39]
	v_mul_f64 v[80:81], v[80:81], s[6:7]
	v_fma_f64 v[139:140], v[74:75], s[16:17], v[131:132]
	v_add_f64 v[94:95], v[139:140], v[94:95]
	v_fma_f64 v[139:140], v[56:57], s[18:19], -v[109:110]
	v_fma_f64 v[109:110], v[56:57], s[18:19], v[109:110]
	v_fma_f64 v[56:57], v[56:57], s[14:15], v[113:114]
	v_add_f64 v[111:112], v[139:140], v[111:112]
	v_fma_f64 v[139:140], v[58:59], s[18:19], v[107:108]
	v_add_f64 v[109:110], v[109:110], v[135:136]
	v_fma_f64 v[107:108], v[58:59], s[18:19], -v[107:108]
	v_fma_f64 v[58:59], v[58:59], s[14:15], -v[115:116]
	v_add_f64 v[56:57], v[56:57], v[133:134]
	v_add_f64 v[127:128], v[139:140], v[127:128]
	v_fma_f64 v[139:140], v[60:61], s[22:23], -v[105:106]
	v_fma_f64 v[105:106], v[60:61], s[22:23], v[105:106]
	v_add_f64 v[107:108], v[107:108], v[137:138]
	v_fma_f64 v[60:61], v[60:61], s[18:19], v[119:120]
	v_add_f64 v[58:59], v[58:59], v[117:118]
	v_add_f64 v[111:112], v[139:140], v[111:112]
	v_fma_f64 v[139:140], v[62:63], s[22:23], v[103:104]
	v_add_f64 v[105:106], v[105:106], v[109:110]
	v_fma_f64 v[103:104], v[62:63], s[22:23], -v[103:104]
	v_fma_f64 v[62:63], v[62:63], s[18:19], -v[121:122]
	v_add_f64 v[56:57], v[60:61], v[56:57]
	v_fma_f64 v[60:61], v[72:73], s[16:17], v[129:130]
	v_add_f64 v[127:128], v[139:140], v[127:128]
	v_fma_f64 v[139:140], v[64:65], s[16:17], -v[101:102]
	v_fma_f64 v[101:102], v[64:65], s[16:17], v[101:102]
	v_add_f64 v[103:104], v[103:104], v[107:108]
	v_fma_f64 v[64:65], v[64:65], s[28:29], v[123:124]
	v_add_f64 v[58:59], v[62:63], v[58:59]
	v_fma_f64 v[62:63], v[74:75], s[16:17], -v[131:132]
	v_add_f64 v[111:112], v[139:140], v[111:112]
	v_mul_f64 v[139:140], v[98:99], s[38:39]
	v_add_f64 v[101:102], v[101:102], v[105:106]
	v_add_f64 v[56:57], v[64:65], v[56:57]
	v_fma_f64 v[98:99], v[66:67], s[16:17], v[139:140]
	v_fma_f64 v[105:106], v[66:67], s[16:17], -v[139:140]
	v_fma_f64 v[66:67], v[66:67], s[28:29], -v[125:126]
	v_add_f64 v[56:57], v[60:61], v[56:57]
	v_mul_lo_u16 v60, v82, 11
	v_and_b32_e32 v60, 0xffff, v60
	v_lshl_add_u32 v160, v60, 4, v83
	v_add_f64 v[98:99], v[98:99], v[127:128]
	v_mul_f64 v[127:128], v[96:97], s[6:7]
	v_add_f64 v[103:104], v[105:106], v[103:104]
	v_add_f64 v[58:59], v[66:67], v[58:59]
	v_fma_f64 v[96:97], v[72:73], s[14:15], -v[127:128]
	v_fma_f64 v[105:106], v[72:73], s[14:15], v[127:128]
	v_add_f64 v[58:59], v[62:63], v[58:59]
	v_add_f64 v[96:97], v[96:97], v[111:112]
	v_fma_f64 v[111:112], v[74:75], s[14:15], v[80:81]
	v_fma_f64 v[80:81], v[74:75], s[14:15], -v[80:81]
	v_add_f64 v[101:102], v[105:106], v[101:102]
	v_add_f64 v[98:99], v[111:112], v[98:99]
	v_add_f64 v[103:104], v[80:81], v[103:104]
	ds_write_b128 v160, v[52:55] offset:16
	ds_write_b128 v160, v[68:71] offset:32
	;; [unrolled: 1-line block ×9, first 2 shown]
	v_mul_u32_u24_e32 v52, 10, v157
	ds_write_b128 v160, v[48:51] offset:160
	ds_write_b128 v160, v[44:47]
	s_waitcnt lgkmcnt(0)
	s_barrier
	buffer_gl0_inv
	v_lshlrev_b32_e32 v113, 4, v52
	s_clause 0x1
	global_load_dwordx4 v[48:51], v113, s[10:11]
	global_load_dwordx4 v[44:47], v113, s[10:11] offset:16
	ds_read_b128 v[52:55], v158 offset:176
	ds_read_b128 v[125:128], v158
	s_waitcnt vmcnt(1) lgkmcnt(1)
	v_mul_f64 v[56:57], v[54:55], v[50:51]
	v_fma_f64 v[123:124], v[52:53], v[48:49], -v[56:57]
	v_mul_f64 v[52:53], v[52:53], v[50:51]
	v_fma_f64 v[129:130], v[54:55], v[48:49], v[52:53]
	ds_read_b128 v[52:55], v158 offset:352
	ds_read_b128 v[56:59], v158 offset:528
	s_waitcnt vmcnt(0) lgkmcnt(1)
	v_mul_f64 v[60:61], v[54:55], v[46:47]
	v_fma_f64 v[84:85], v[52:53], v[44:45], -v[60:61]
	v_mul_f64 v[52:53], v[52:53], v[46:47]
	v_fma_f64 v[86:87], v[54:55], v[44:45], v[52:53]
	s_clause 0x1
	global_load_dwordx4 v[64:67], v113, s[10:11] offset:32
	global_load_dwordx4 v[52:55], v113, s[10:11] offset:48
	s_waitcnt vmcnt(1) lgkmcnt(0)
	v_mul_f64 v[60:61], v[58:59], v[66:67]
	v_fma_f64 v[88:89], v[56:57], v[64:65], -v[60:61]
	v_mul_f64 v[56:57], v[56:57], v[66:67]
	v_fma_f64 v[90:91], v[58:59], v[64:65], v[56:57]
	ds_read_b128 v[56:59], v158 offset:704
	ds_read_b128 v[60:63], v158 offset:880
	s_waitcnt vmcnt(0) lgkmcnt(1)
	v_mul_f64 v[68:69], v[58:59], v[54:55]
	v_fma_f64 v[92:93], v[56:57], v[52:53], -v[68:69]
	v_mul_f64 v[56:57], v[56:57], v[54:55]
	v_fma_f64 v[94:95], v[58:59], v[52:53], v[56:57]
	s_clause 0x1
	global_load_dwordx4 v[68:71], v113, s[10:11] offset:64
	global_load_dwordx4 v[56:59], v113, s[10:11] offset:80
	s_waitcnt vmcnt(1) lgkmcnt(0)
	v_mul_f64 v[72:73], v[62:63], v[70:71]
	v_fma_f64 v[96:97], v[60:61], v[68:69], -v[72:73]
	v_mul_f64 v[60:61], v[60:61], v[70:71]
	v_fma_f64 v[98:99], v[62:63], v[68:69], v[60:61]
	ds_read_b128 v[60:63], v158 offset:1056
	ds_read_b128 v[72:75], v158 offset:1232
	s_waitcnt vmcnt(0) lgkmcnt(1)
	v_mul_f64 v[76:77], v[62:63], v[58:59]
	v_fma_f64 v[101:102], v[60:61], v[56:57], -v[76:77]
	v_mul_f64 v[60:61], v[60:61], v[58:59]
	v_add_f64 v[209:210], v[96:97], v[101:102]
	v_fma_f64 v[103:104], v[62:63], v[56:57], v[60:61]
	s_clause 0x1
	global_load_dwordx4 v[76:79], v113, s[10:11] offset:96
	global_load_dwordx4 v[60:63], v113, s[10:11] offset:112
	v_add_f64 v[213:214], v[96:97], -v[101:102]
	v_add_f64 v[207:208], v[98:99], -v[103:104]
	v_add_f64 v[215:216], v[98:99], v[103:104]
	v_mul_f64 v[217:218], v[213:214], s[26:27]
	v_mul_f64 v[211:212], v[207:208], s[26:27]
	s_waitcnt vmcnt(1) lgkmcnt(0)
	v_mul_f64 v[80:81], v[74:75], v[78:79]
	v_fma_f64 v[105:106], v[72:73], v[76:77], -v[80:81]
	v_mul_f64 v[72:73], v[72:73], v[78:79]
	v_add_f64 v[201:202], v[92:93], v[105:106]
	v_fma_f64 v[107:108], v[74:75], v[76:77], v[72:73]
	ds_read_b128 v[72:75], v158 offset:1408
	ds_read_b128 v[115:118], v158 offset:1584
	v_add_f64 v[203:204], v[92:93], -v[105:106]
	s_waitcnt vmcnt(0) lgkmcnt(1)
	v_mul_f64 v[80:81], v[74:75], v[62:63]
	v_add_f64 v[199:200], v[94:95], -v[107:108]
	v_add_f64 v[205:206], v[94:95], v[107:108]
	v_fma_f64 v[109:110], v[72:73], v[60:61], -v[80:81]
	v_mul_f64 v[72:73], v[72:73], v[62:63]
	v_add_f64 v[197:198], v[88:89], -v[109:110]
	v_fma_f64 v[111:112], v[74:75], v[60:61], v[72:73]
	s_clause 0x1
	global_load_dwordx4 v[80:83], v113, s[10:11] offset:128
	global_load_dwordx4 v[72:75], v113, s[10:11] offset:144
	ds_read_b128 v[119:122], v158 offset:1760
	v_add_f64 v[195:196], v[90:91], -v[111:112]
	s_waitcnt vmcnt(1) lgkmcnt(1)
	v_mul_f64 v[113:114], v[117:118], v[82:83]
	v_fma_f64 v[113:114], v[115:116], v[80:81], -v[113:114]
	v_mul_f64 v[115:116], v[115:116], v[82:83]
	v_fma_f64 v[115:116], v[117:118], v[80:81], v[115:116]
	s_waitcnt vmcnt(0) lgkmcnt(0)
	v_mul_f64 v[117:118], v[119:120], v[74:75]
	v_fma_f64 v[117:118], v[121:122], v[72:73], v[117:118]
	v_mul_f64 v[121:122], v[121:122], v[74:75]
	v_add_f64 v[163:164], v[129:130], v[117:118]
	v_fma_f64 v[119:120], v[119:120], v[72:73], -v[121:122]
	v_add_f64 v[121:122], v[129:130], -v[117:118]
	v_add_f64 v[139:140], v[123:124], v[119:120]
	v_mul_f64 v[131:132], v[121:122], s[24:25]
	v_mul_f64 v[133:134], v[121:122], s[20:21]
	;; [unrolled: 1-line block ×5, first 2 shown]
	v_fma_f64 v[141:142], v[139:140], s[18:19], -v[131:132]
	v_fma_f64 v[131:132], v[139:140], s[18:19], v[131:132]
	v_fma_f64 v[143:144], v[139:140], s[16:17], -v[133:134]
	v_fma_f64 v[133:134], v[139:140], s[16:17], v[133:134]
	;; [unrolled: 2-line block ×3, first 2 shown]
	v_add_f64 v[121:122], v[123:124], -v[119:120]
	v_fma_f64 v[145:146], v[139:140], s[14:15], -v[135:136]
	v_fma_f64 v[135:136], v[139:140], s[14:15], v[135:136]
	v_fma_f64 v[147:148], v[139:140], s[22:23], -v[137:138]
	v_fma_f64 v[137:138], v[139:140], s[22:23], v[137:138]
	v_add_f64 v[177:178], v[125:126], v[141:142]
	v_add_f64 v[141:142], v[86:87], -v[115:116]
	v_add_f64 v[179:180], v[125:126], v[131:132]
	v_add_f64 v[183:184], v[125:126], v[143:144]
	v_add_f64 v[143:144], v[84:85], -v[113:114]
	v_add_f64 v[187:188], v[125:126], v[133:134]
	v_mul_f64 v[151:152], v[121:122], s[20:21]
	v_mul_f64 v[139:140], v[121:122], s[24:25]
	;; [unrolled: 1-line block ×5, first 2 shown]
	v_add_f64 v[191:192], v[125:126], v[145:146]
	v_add_f64 v[147:148], v[125:126], v[147:148]
	v_fma_f64 v[167:168], v[163:164], s[16:17], v[151:152]
	v_fma_f64 v[165:166], v[163:164], s[18:19], v[139:140]
	v_fma_f64 v[139:140], v[163:164], s[18:19], -v[139:140]
	v_fma_f64 v[151:152], v[163:164], s[16:17], -v[151:152]
	v_fma_f64 v[169:170], v[163:164], s[14:15], v[153:154]
	v_fma_f64 v[171:172], v[163:164], s[14:15], -v[153:154]
	v_fma_f64 v[173:174], v[163:164], s[22:23], v[161:162]
	v_fma_f64 v[161:162], v[163:164], s[22:23], -v[161:162]
	v_fma_f64 v[175:176], v[163:164], s[28:29], v[121:122]
	v_fma_f64 v[163:164], v[163:164], s[28:29], -v[121:122]
	v_add_f64 v[121:122], v[125:126], v[123:124]
	v_add_f64 v[123:124], v[127:128], v[129:130]
	;; [unrolled: 1-line block ×6, first 2 shown]
	v_mul_f64 v[167:168], v[141:142], s[20:21]
	v_add_f64 v[181:182], v[127:128], v[139:140]
	v_add_f64 v[139:140], v[125:126], v[137:138]
	;; [unrolled: 1-line block ×4, first 2 shown]
	v_mul_f64 v[169:170], v[143:144], s[20:21]
	v_add_f64 v[165:166], v[127:128], v[165:166]
	v_add_f64 v[137:138], v[127:128], v[161:162]
	;; [unrolled: 1-line block ×7, first 2 shown]
	v_mul_f64 v[171:172], v[197:198], s[6:7]
	v_add_f64 v[84:85], v[121:122], v[84:85]
	v_fma_f64 v[131:132], v[129:130], s[16:17], -v[167:168]
	v_fma_f64 v[167:168], v[129:130], s[16:17], v[167:168]
	v_add_f64 v[84:85], v[84:85], v[88:89]
	v_add_f64 v[155:156], v[131:132], v[177:178]
	;; [unrolled: 1-line block ×6, first 2 shown]
	v_fma_f64 v[149:150], v[131:132], s[16:17], v[169:170]
	v_fma_f64 v[169:170], v[131:132], s[16:17], -v[169:170]
	v_add_f64 v[86:87], v[86:87], v[90:91]
	v_add_f64 v[84:85], v[84:85], v[96:97]
	;; [unrolled: 1-line block ×4, first 2 shown]
	v_mul_f64 v[165:166], v[195:196], s[6:7]
	v_add_f64 v[169:170], v[169:170], v[181:182]
	v_add_f64 v[86:87], v[86:87], v[94:95]
	;; [unrolled: 1-line block ×3, first 2 shown]
	v_fma_f64 v[163:164], v[149:150], s[14:15], -v[165:166]
	v_fma_f64 v[165:166], v[149:150], s[14:15], v[165:166]
	v_add_f64 v[86:87], v[86:87], v[98:99]
	v_add_f64 v[84:85], v[84:85], v[105:106]
	;; [unrolled: 1-line block ×7, first 2 shown]
	v_fma_f64 v[173:174], v[155:156], s[14:15], v[171:172]
	v_fma_f64 v[167:168], v[155:156], s[14:15], -v[171:172]
	v_fma_f64 v[171:172], v[215:216], s[28:29], -v[217:218]
	v_add_f64 v[86:87], v[86:87], v[107:108]
	v_add_f64 v[84:85], v[84:85], v[113:114]
	;; [unrolled: 1-line block ×3, first 2 shown]
	v_mul_f64 v[173:174], v[199:200], s[12:13]
	v_add_f64 v[167:168], v[167:168], v[169:170]
	v_add_f64 v[86:87], v[86:87], v[111:112]
	;; [unrolled: 1-line block ×3, first 2 shown]
	v_fma_f64 v[175:176], v[201:202], s[22:23], -v[173:174]
	v_fma_f64 v[169:170], v[201:202], s[22:23], v[173:174]
	v_mul_f64 v[173:174], v[141:142], s[12:13]
	v_add_f64 v[86:87], v[86:87], v[115:116]
	v_add_f64 v[163:164], v[175:176], v[163:164]
	v_mul_f64 v[175:176], v[203:204], s[12:13]
	v_add_f64 v[165:166], v[169:170], v[165:166]
	v_add_f64 v[86:87], v[86:87], v[117:118]
	v_fma_f64 v[177:178], v[205:206], s[22:23], v[175:176]
	v_fma_f64 v[169:170], v[205:206], s[22:23], -v[175:176]
	v_mul_f64 v[175:176], v[143:144], s[12:13]
	v_add_f64 v[177:178], v[177:178], v[161:162]
	v_fma_f64 v[161:162], v[209:210], s[28:29], -v[211:212]
	v_add_f64 v[167:168], v[169:170], v[167:168]
	v_fma_f64 v[169:170], v[209:210], s[28:29], v[211:212]
	v_add_f64 v[161:162], v[161:162], v[163:164]
	v_fma_f64 v[163:164], v[215:216], s[28:29], v[217:218]
	v_add_f64 v[165:166], v[169:170], v[165:166]
	v_fma_f64 v[169:170], v[129:130], s[22:23], -v[173:174]
	v_add_f64 v[167:168], v[171:172], v[167:168]
	v_fma_f64 v[171:172], v[131:132], s[22:23], v[175:176]
	v_fma_f64 v[173:174], v[129:130], s[22:23], v[173:174]
	v_fma_f64 v[175:176], v[131:132], s[22:23], -v[175:176]
	v_add_f64 v[163:164], v[163:164], v[177:178]
	v_mul_f64 v[177:178], v[195:196], s[36:37]
	v_add_f64 v[169:170], v[169:170], v[183:184]
	v_add_f64 v[171:172], v[171:172], v[185:186]
	;; [unrolled: 1-line block ×4, first 2 shown]
	v_fma_f64 v[179:180], v[149:150], s[28:29], -v[177:178]
	v_fma_f64 v[177:178], v[149:150], s[28:29], v[177:178]
	v_add_f64 v[169:170], v[179:180], v[169:170]
	v_mul_f64 v[179:180], v[197:198], s[36:37]
	v_add_f64 v[173:174], v[177:178], v[173:174]
	v_fma_f64 v[181:182], v[155:156], s[28:29], v[179:180]
	v_fma_f64 v[177:178], v[155:156], s[28:29], -v[179:180]
	v_add_f64 v[171:172], v[181:182], v[171:172]
	v_mul_f64 v[181:182], v[199:200], s[30:31]
	v_add_f64 v[175:176], v[177:178], v[175:176]
	v_fma_f64 v[183:184], v[201:202], s[14:15], -v[181:182]
	v_fma_f64 v[177:178], v[201:202], s[14:15], v[181:182]
	v_mul_f64 v[181:182], v[141:142], s[36:37]
	v_add_f64 v[169:170], v[183:184], v[169:170]
	v_mul_f64 v[183:184], v[203:204], s[30:31]
	v_add_f64 v[173:174], v[177:178], v[173:174]
	v_fma_f64 v[185:186], v[205:206], s[14:15], v[183:184]
	v_fma_f64 v[177:178], v[205:206], s[14:15], -v[183:184]
	v_mul_f64 v[183:184], v[143:144], s[36:37]
	v_add_f64 v[171:172], v[185:186], v[171:172]
	v_mul_f64 v[185:186], v[207:208], s[34:35]
	v_add_f64 v[175:176], v[177:178], v[175:176]
	v_fma_f64 v[211:212], v[209:210], s[18:19], -v[185:186]
	v_fma_f64 v[177:178], v[209:210], s[18:19], v[185:186]
	v_mul_f64 v[185:186], v[195:196], s[38:39]
	v_add_f64 v[169:170], v[211:212], v[169:170]
	v_mul_f64 v[211:212], v[213:214], s[34:35]
	v_add_f64 v[173:174], v[177:178], v[173:174]
	v_fma_f64 v[177:178], v[129:130], s[28:29], -v[181:182]
	v_fma_f64 v[187:188], v[149:150], s[16:17], -v[185:186]
	v_fma_f64 v[181:182], v[129:130], s[28:29], v[181:182]
	v_fma_f64 v[179:180], v[215:216], s[18:19], -v[211:212]
	v_fma_f64 v[217:218], v[215:216], s[18:19], v[211:212]
	v_add_f64 v[177:178], v[177:178], v[191:192]
	v_add_f64 v[153:154], v[181:182], v[153:154]
	v_fma_f64 v[181:182], v[131:132], s[28:29], -v[183:184]
	v_add_f64 v[175:176], v[179:180], v[175:176]
	v_fma_f64 v[179:180], v[131:132], s[28:29], v[183:184]
	v_add_f64 v[177:178], v[187:188], v[177:178]
	v_mul_f64 v[187:188], v[197:198], s[38:39]
	v_add_f64 v[171:172], v[217:218], v[171:172]
	v_add_f64 v[151:152], v[181:182], v[151:152]
	v_fma_f64 v[181:182], v[149:150], s[16:17], v[185:186]
	v_add_f64 v[179:180], v[179:180], v[193:194]
	v_fma_f64 v[189:190], v[155:156], s[16:17], v[187:188]
	v_add_f64 v[153:154], v[181:182], v[153:154]
	v_fma_f64 v[181:182], v[155:156], s[16:17], -v[187:188]
	v_add_f64 v[179:180], v[189:190], v[179:180]
	v_mul_f64 v[189:190], v[199:200], s[24:25]
	v_add_f64 v[151:152], v[181:182], v[151:152]
	v_fma_f64 v[191:192], v[201:202], s[18:19], -v[189:190]
	v_fma_f64 v[181:182], v[201:202], s[18:19], v[189:190]
	v_add_f64 v[177:178], v[191:192], v[177:178]
	v_mul_f64 v[191:192], v[203:204], s[24:25]
	v_add_f64 v[153:154], v[181:182], v[153:154]
	v_fma_f64 v[193:194], v[205:206], s[18:19], v[191:192]
	v_fma_f64 v[181:182], v[205:206], s[18:19], -v[191:192]
	v_add_f64 v[179:180], v[193:194], v[179:180]
	v_mul_f64 v[193:194], v[207:208], s[12:13]
	v_add_f64 v[181:182], v[181:182], v[151:152]
	v_fma_f64 v[211:212], v[209:210], s[22:23], -v[193:194]
	v_fma_f64 v[151:152], v[209:210], s[22:23], v[193:194]
	v_add_f64 v[177:178], v[211:212], v[177:178]
	v_mul_f64 v[211:212], v[213:214], s[12:13]
	v_add_f64 v[151:152], v[151:152], v[153:154]
	v_fma_f64 v[183:184], v[215:216], s[22:23], -v[211:212]
	v_fma_f64 v[217:218], v[215:216], s[22:23], v[211:212]
	v_mul_f64 v[211:212], v[207:208], s[38:39]
	v_add_f64 v[153:154], v[183:184], v[181:182]
	v_mul_f64 v[181:182], v[141:142], s[30:31]
	v_add_f64 v[179:180], v[217:218], v[179:180]
	v_mul_f64 v[217:218], v[213:214], s[38:39]
	v_mul_f64 v[141:142], v[141:142], s[34:35]
	v_fma_f64 v[183:184], v[129:130], s[14:15], -v[181:182]
	v_fma_f64 v[181:182], v[129:130], s[14:15], v[181:182]
	v_add_f64 v[147:148], v[183:184], v[147:148]
	v_mul_f64 v[183:184], v[143:144], s[30:31]
	v_add_f64 v[139:140], v[181:182], v[139:140]
	v_mul_f64 v[143:144], v[143:144], s[34:35]
	v_fma_f64 v[185:186], v[131:132], s[14:15], v[183:184]
	v_fma_f64 v[181:182], v[131:132], s[14:15], -v[183:184]
	v_fma_f64 v[183:184], v[215:216], s[16:17], -v[217:218]
	v_add_f64 v[145:146], v[185:186], v[145:146]
	v_mul_f64 v[185:186], v[195:196], s[24:25]
	v_add_f64 v[137:138], v[181:182], v[137:138]
	v_fma_f64 v[187:188], v[149:150], s[18:19], -v[185:186]
	v_fma_f64 v[181:182], v[149:150], s[18:19], v[185:186]
	v_add_f64 v[147:148], v[187:188], v[147:148]
	v_mul_f64 v[187:188], v[197:198], s[24:25]
	v_add_f64 v[139:140], v[181:182], v[139:140]
	v_fma_f64 v[189:190], v[155:156], s[18:19], v[187:188]
	v_fma_f64 v[181:182], v[155:156], s[18:19], -v[187:188]
	v_add_f64 v[145:146], v[189:190], v[145:146]
	v_mul_f64 v[189:190], v[199:200], s[26:27]
	v_add_f64 v[137:138], v[181:182], v[137:138]
	v_fma_f64 v[191:192], v[201:202], s[28:29], -v[189:190]
	v_fma_f64 v[181:182], v[201:202], s[28:29], v[189:190]
	v_add_f64 v[147:148], v[191:192], v[147:148]
	v_mul_f64 v[191:192], v[203:204], s[26:27]
	v_add_f64 v[139:140], v[181:182], v[139:140]
	v_fma_f64 v[181:182], v[205:206], s[28:29], -v[191:192]
	v_fma_f64 v[193:194], v[205:206], s[28:29], v[191:192]
	v_mul_f64 v[191:192], v[207:208], s[6:7]
	v_add_f64 v[181:182], v[181:182], v[137:138]
	v_fma_f64 v[137:138], v[209:210], s[16:17], v[211:212]
	v_add_f64 v[193:194], v[193:194], v[145:146]
	v_fma_f64 v[145:146], v[209:210], s[16:17], -v[211:212]
	v_add_f64 v[137:138], v[137:138], v[139:140]
	v_add_f64 v[139:140], v[183:184], v[181:182]
	v_fma_f64 v[181:182], v[129:130], s[18:19], -v[141:142]
	v_fma_f64 v[129:130], v[129:130], s[18:19], v[141:142]
	v_add_f64 v[145:146], v[145:146], v[147:148]
	v_fma_f64 v[147:148], v[215:216], s[16:17], v[217:218]
	v_add_f64 v[135:136], v[181:182], v[135:136]
	v_fma_f64 v[181:182], v[131:132], s[18:19], v[143:144]
	v_fma_f64 v[131:132], v[131:132], s[18:19], -v[143:144]
	v_add_f64 v[125:126], v[129:130], v[125:126]
	v_add_f64 v[147:148], v[147:148], v[193:194]
	v_mul_f64 v[193:194], v[213:214], s[6:7]
	v_add_f64 v[133:134], v[181:182], v[133:134]
	v_mul_f64 v[181:182], v[195:196], s[12:13]
	v_add_f64 v[127:128], v[131:132], v[127:128]
	v_fma_f64 v[183:184], v[149:150], s[22:23], -v[181:182]
	v_fma_f64 v[141:142], v[149:150], s[22:23], v[181:182]
	v_add_f64 v[135:136], v[183:184], v[135:136]
	v_mul_f64 v[183:184], v[197:198], s[12:13]
	v_add_f64 v[125:126], v[141:142], v[125:126]
	v_fma_f64 v[141:142], v[209:210], s[14:15], v[191:192]
	v_fma_f64 v[185:186], v[155:156], s[22:23], v[183:184]
	v_fma_f64 v[143:144], v[155:156], s[22:23], -v[183:184]
	v_add_f64 v[133:134], v[185:186], v[133:134]
	v_mul_f64 v[185:186], v[199:200], s[38:39]
	v_add_f64 v[127:128], v[143:144], v[127:128]
	v_fma_f64 v[143:144], v[215:216], s[14:15], -v[193:194]
	v_fma_f64 v[187:188], v[201:202], s[16:17], -v[185:186]
	v_fma_f64 v[129:130], v[201:202], s[16:17], v[185:186]
	v_add_f64 v[135:136], v[187:188], v[135:136]
	v_mul_f64 v[187:188], v[203:204], s[38:39]
	v_add_f64 v[125:126], v[129:130], v[125:126]
	v_fma_f64 v[189:190], v[205:206], s[16:17], v[187:188]
	v_fma_f64 v[131:132], v[205:206], s[16:17], -v[187:188]
	v_add_f64 v[125:126], v[141:142], v[125:126]
	v_add_f64 v[189:190], v[189:190], v[133:134]
	v_fma_f64 v[133:134], v[209:210], s[14:15], -v[191:192]
	v_add_f64 v[127:128], v[131:132], v[127:128]
	v_add_f64 v[133:134], v[133:134], v[135:136]
	v_fma_f64 v[135:136], v[215:216], s[14:15], v[193:194]
	v_add_f64 v[127:128], v[143:144], v[127:128]
	v_add_f64 v[135:136], v[135:136], v[189:190]
	ds_write_b128 v158, v[161:164] offset:176
	ds_write_b128 v158, v[169:172] offset:352
	;; [unrolled: 1-line block ×10, first 2 shown]
	ds_write_b128 v158, v[84:87]
	s_waitcnt lgkmcnt(0)
	s_barrier
	buffer_gl0_inv
	global_load_dwordx4 v[84:87], v159, s[8:9] offset:1936
	ds_read_b128 v[88:91], v158
	ds_read_b128 v[92:95], v158 offset:176
	s_mov_b32 s9, 0x3fe82f19
	s_mov_b32 s8, s12
	s_waitcnt vmcnt(0) lgkmcnt(1)
	v_mul_f64 v[96:97], v[90:91], v[86:87]
	v_mul_f64 v[98:99], v[88:89], v[86:87]
	v_fma_f64 v[86:87], v[88:89], v[84:85], -v[96:97]
	v_fma_f64 v[88:89], v[90:91], v[84:85], v[98:99]
	s_clause 0x1
	global_load_dwordx4 v[96:99], v159, s[40:41] offset:176
	global_load_dwordx4 v[101:104], v159, s[40:41] offset:352
	s_waitcnt vmcnt(1) lgkmcnt(0)
	v_mul_f64 v[84:85], v[94:95], v[98:99]
	v_mul_f64 v[98:99], v[92:93], v[98:99]
	v_fma_f64 v[90:91], v[92:93], v[96:97], -v[84:85]
	v_fma_f64 v[92:93], v[94:95], v[96:97], v[98:99]
	ds_read_b128 v[94:97], v158 offset:352
	ds_read_b128 v[105:108], v158 offset:528
	s_waitcnt vmcnt(0) lgkmcnt(1)
	v_mul_f64 v[84:85], v[96:97], v[103:104]
	v_mul_f64 v[98:99], v[94:95], v[103:104]
	v_fma_f64 v[94:95], v[94:95], v[101:102], -v[84:85]
	v_fma_f64 v[96:97], v[96:97], v[101:102], v[98:99]
	s_clause 0x1
	global_load_dwordx4 v[101:104], v159, s[40:41] offset:528
	global_load_dwordx4 v[109:112], v159, s[40:41] offset:704
	ds_read_b128 v[113:116], v158 offset:704
	ds_read_b128 v[117:120], v158 offset:880
	s_waitcnt vmcnt(1) lgkmcnt(2)
	v_mul_f64 v[84:85], v[107:108], v[103:104]
	v_mul_f64 v[98:99], v[105:106], v[103:104]
	v_fma_f64 v[103:104], v[105:106], v[101:102], -v[84:85]
	s_waitcnt vmcnt(0) lgkmcnt(1)
	v_mul_f64 v[84:85], v[115:116], v[111:112]
	v_fma_f64 v[105:106], v[107:108], v[101:102], v[98:99]
	v_mul_f64 v[98:99], v[113:114], v[111:112]
	v_fma_f64 v[107:108], v[113:114], v[109:110], -v[84:85]
	s_clause 0x1
	global_load_dwordx4 v[111:114], v159, s[40:41] offset:880
	global_load_dwordx4 v[121:124], v159, s[40:41] offset:1056
	v_fma_f64 v[109:110], v[115:116], v[109:110], v[98:99]
	s_waitcnt vmcnt(1) lgkmcnt(0)
	v_mul_f64 v[84:85], v[119:120], v[113:114]
	v_mul_f64 v[98:99], v[117:118], v[113:114]
	v_fma_f64 v[113:114], v[117:118], v[111:112], -v[84:85]
	v_fma_f64 v[115:116], v[119:120], v[111:112], v[98:99]
	ds_read_b128 v[117:120], v158 offset:1056
	ds_read_b128 v[125:128], v158 offset:1232
	s_waitcnt vmcnt(0) lgkmcnt(1)
	v_mul_f64 v[84:85], v[119:120], v[123:124]
	v_mul_f64 v[98:99], v[117:118], v[123:124]
	v_fma_f64 v[117:118], v[117:118], v[121:122], -v[84:85]
	v_fma_f64 v[119:120], v[119:120], v[121:122], v[98:99]
	s_clause 0x1
	global_load_dwordx4 v[121:124], v159, s[40:41] offset:1232
	global_load_dwordx4 v[129:132], v159, s[40:41] offset:1408
	ds_read_b128 v[133:136], v158 offset:1408
	ds_read_b128 v[137:140], v158 offset:1584
	s_waitcnt vmcnt(1) lgkmcnt(2)
	v_mul_f64 v[84:85], v[127:128], v[123:124]
	v_mul_f64 v[98:99], v[125:126], v[123:124]
	v_fma_f64 v[123:124], v[125:126], v[121:122], -v[84:85]
	s_waitcnt vmcnt(0) lgkmcnt(1)
	v_mul_f64 v[84:85], v[135:136], v[131:132]
	v_fma_f64 v[125:126], v[127:128], v[121:122], v[98:99]
	v_mul_f64 v[98:99], v[133:134], v[131:132]
	v_fma_f64 v[127:128], v[133:134], v[129:130], -v[84:85]
	s_clause 0x1
	global_load_dwordx4 v[131:134], v159, s[40:41] offset:1584
	global_load_dwordx4 v[141:144], v159, s[40:41] offset:1760
	v_fma_f64 v[129:130], v[135:136], v[129:130], v[98:99]
	s_waitcnt vmcnt(1) lgkmcnt(0)
	v_mul_f64 v[84:85], v[139:140], v[133:134]
	v_mul_f64 v[98:99], v[137:138], v[133:134]
	v_fma_f64 v[133:134], v[137:138], v[131:132], -v[84:85]
	v_fma_f64 v[135:136], v[139:140], v[131:132], v[98:99]
	ds_read_b128 v[137:140], v158 offset:1760
	s_waitcnt vmcnt(0) lgkmcnt(0)
	v_mul_f64 v[84:85], v[139:140], v[143:144]
	v_mul_f64 v[98:99], v[137:138], v[143:144]
	v_fma_f64 v[137:138], v[137:138], v[141:142], -v[84:85]
	v_fma_f64 v[139:140], v[139:140], v[141:142], v[98:99]
	ds_write_b128 v158, v[86:89]
	ds_write_b128 v158, v[90:93] offset:176
	ds_write_b128 v158, v[94:97] offset:352
	;; [unrolled: 1-line block ×10, first 2 shown]
	s_waitcnt lgkmcnt(0)
	s_barrier
	buffer_gl0_inv
	ds_read_b128 v[84:87], v158
	ds_read_b128 v[88:91], v158 offset:176
	ds_read_b128 v[92:95], v158 offset:352
	;; [unrolled: 1-line block ×3, first 2 shown]
	s_waitcnt lgkmcnt(2)
	v_add_f64 v[101:102], v[84:85], v[88:89]
	v_add_f64 v[103:104], v[86:87], v[90:91]
	s_waitcnt lgkmcnt(1)
	v_add_f64 v[101:102], v[101:102], v[92:93]
	v_add_f64 v[103:104], v[103:104], v[94:95]
	;; [unrolled: 3-line block ×3, first 2 shown]
	ds_read_b128 v[107:110], v158 offset:704
	ds_read_b128 v[103:106], v158 offset:880
	s_waitcnt lgkmcnt(1)
	v_add_f64 v[101:102], v[101:102], v[107:108]
	v_add_f64 v[111:112], v[111:112], v[109:110]
	s_waitcnt lgkmcnt(0)
	v_add_f64 v[119:120], v[101:102], v[103:104]
	v_add_f64 v[121:122], v[111:112], v[105:106]
	ds_read_b128 v[111:114], v158 offset:1056
	ds_read_b128 v[115:118], v158 offset:1232
	s_waitcnt lgkmcnt(1)
	v_add_f64 v[101:102], v[103:104], v[111:112]
	v_add_f64 v[135:136], v[105:106], v[113:114]
	v_add_f64 v[103:104], v[103:104], -v[111:112]
	v_add_f64 v[137:138], v[105:106], -v[113:114]
	v_add_f64 v[111:112], v[119:120], v[111:112]
	v_add_f64 v[113:114], v[121:122], v[113:114]
	s_waitcnt lgkmcnt(0)
	v_add_f64 v[105:106], v[107:108], v[115:116]
	v_add_f64 v[139:140], v[109:110], v[117:118]
	v_add_f64 v[107:108], v[107:108], -v[115:116]
	v_add_f64 v[141:142], v[109:110], -v[117:118]
	v_mul_f64 v[193:194], v[135:136], s[28:29]
	v_mul_f64 v[191:192], v[137:138], s[26:27]
	v_add_f64 v[119:120], v[111:112], v[115:116]
	v_add_f64 v[121:122], v[113:114], v[117:118]
	ds_read_b128 v[111:114], v158 offset:1408
	ds_read_b128 v[115:118], v158 offset:1584
	v_mul_f64 v[189:190], v[139:140], s[22:23]
	v_mul_f64 v[187:188], v[141:142], s[12:13]
	s_waitcnt lgkmcnt(1)
	v_add_f64 v[109:110], v[96:97], v[111:112]
	v_add_f64 v[143:144], v[98:99], v[113:114]
	v_add_f64 v[96:97], v[96:97], -v[111:112]
	v_add_f64 v[145:146], v[98:99], -v[113:114]
	v_add_f64 v[111:112], v[119:120], v[111:112]
	v_add_f64 v[113:114], v[121:122], v[113:114]
	s_waitcnt lgkmcnt(0)
	v_add_f64 v[98:99], v[92:93], v[115:116]
	v_add_f64 v[147:148], v[94:95], v[117:118]
	v_add_f64 v[92:93], v[92:93], -v[115:116]
	v_add_f64 v[94:95], v[94:95], -v[117:118]
	v_mul_f64 v[185:186], v[143:144], s[14:15]
	v_mul_f64 v[183:184], v[145:146], s[6:7]
	v_add_f64 v[115:116], v[111:112], v[115:116]
	v_add_f64 v[117:118], v[113:114], v[117:118]
	ds_read_b128 v[111:114], v158 offset:1760
	v_mul_f64 v[181:182], v[147:148], s[16:17]
	s_waitcnt lgkmcnt(0)
	v_mul_f64 v[179:180], v[94:95], s[20:21]
	s_barrier
	buffer_gl0_inv
	v_add_f64 v[119:120], v[90:91], -v[113:114]
	v_add_f64 v[121:122], v[88:89], v[111:112]
	v_add_f64 v[123:124], v[90:91], v[113:114]
	v_add_f64 v[125:126], v[88:89], -v[111:112]
	v_add_f64 v[88:89], v[115:116], v[111:112]
	v_add_f64 v[90:91], v[117:118], v[113:114]
	v_mul_f64 v[111:112], v[119:120], s[24:25]
	v_mul_f64 v[113:114], v[119:120], s[20:21]
	;; [unrolled: 1-line block ×8, first 2 shown]
	v_fma_f64 v[127:128], v[121:122], s[18:19], v[111:112]
	v_fma_f64 v[111:112], v[121:122], s[18:19], -v[111:112]
	v_fma_f64 v[129:130], v[121:122], s[16:17], v[113:114]
	v_fma_f64 v[113:114], v[121:122], s[16:17], -v[113:114]
	;; [unrolled: 2-line block ×5, first 2 shown]
	v_mul_f64 v[121:122], v[123:124], s[18:19]
	v_mul_f64 v[123:124], v[123:124], s[28:29]
	v_fma_f64 v[163:164], v[125:126], s[38:39], v[151:152]
	v_fma_f64 v[165:166], v[125:126], s[30:31], v[153:154]
	v_fma_f64 v[151:152], v[125:126], s[20:21], v[151:152]
	v_fma_f64 v[153:154], v[125:126], s[6:7], v[153:154]
	v_fma_f64 v[167:168], v[125:126], s[8:9], v[155:156]
	v_fma_f64 v[155:156], v[125:126], s[12:13], v[155:156]
	v_add_f64 v[131:132], v[84:85], v[131:132]
	v_add_f64 v[133:134], v[84:85], v[133:134]
	v_add_f64 v[173:174], v[84:85], v[117:118]
	v_add_f64 v[149:150], v[84:85], v[149:150]
	v_add_f64 v[175:176], v[84:85], v[119:120]
	v_fma_f64 v[161:162], v[125:126], s[34:35], v[121:122]
	v_fma_f64 v[121:122], v[125:126], s[24:25], v[121:122]
	;; [unrolled: 1-line block ×4, first 2 shown]
	v_add_f64 v[125:126], v[84:85], v[127:128]
	v_add_f64 v[151:152], v[86:87], v[151:152]
	;; [unrolled: 1-line block ×5, first 2 shown]
	v_mul_f64 v[117:118], v[147:148], s[22:23]
	v_mul_f64 v[119:120], v[145:146], s[36:37]
	v_add_f64 v[127:128], v[86:87], v[161:162]
	v_add_f64 v[161:162], v[84:85], v[111:112]
	;; [unrolled: 1-line block ×8, first 2 shown]
	v_fma_f64 v[84:85], v[98:99], s[16:17], v[179:180]
	v_add_f64 v[169:170], v[86:87], v[169:170]
	v_add_f64 v[177:178], v[86:87], v[123:124]
	v_fma_f64 v[86:87], v[92:93], s[38:39], v[181:182]
	v_fma_f64 v[113:114], v[109:110], s[14:15], v[183:184]
	v_mul_f64 v[115:116], v[94:95], s[12:13]
	v_add_f64 v[84:85], v[84:85], v[125:126]
	v_add_f64 v[86:87], v[86:87], v[127:128]
	;; [unrolled: 1-line block ×3, first 2 shown]
	v_fma_f64 v[113:114], v[96:97], s[30:31], v[185:186]
	v_add_f64 v[86:87], v[113:114], v[86:87]
	v_fma_f64 v[113:114], v[105:106], s[22:23], v[187:188]
	v_add_f64 v[84:85], v[113:114], v[84:85]
	;; [unrolled: 2-line block ×5, first 2 shown]
	v_fma_f64 v[113:114], v[98:99], s[22:23], v[115:116]
	v_fma_f64 v[115:116], v[98:99], s[22:23], -v[115:116]
	v_add_f64 v[111:112], v[113:114], v[111:112]
	v_fma_f64 v[113:114], v[92:93], s[8:9], v[117:118]
	v_add_f64 v[115:116], v[115:116], v[129:130]
	v_fma_f64 v[117:118], v[92:93], s[12:13], v[117:118]
	;; [unrolled: 2-line block ×3, first 2 shown]
	v_fma_f64 v[119:120], v[109:110], s[28:29], -v[119:120]
	v_add_f64 v[117:118], v[117:118], v[151:152]
	v_add_f64 v[111:112], v[121:122], v[111:112]
	v_mul_f64 v[121:122], v[143:144], s[28:29]
	v_add_f64 v[115:116], v[119:120], v[115:116]
	v_fma_f64 v[123:124], v[96:97], s[26:27], v[121:122]
	v_fma_f64 v[119:120], v[96:97], s[36:37], v[121:122]
	v_add_f64 v[113:114], v[123:124], v[113:114]
	v_mul_f64 v[123:124], v[141:142], s[30:31]
	v_add_f64 v[117:118], v[119:120], v[117:118]
	v_fma_f64 v[125:126], v[105:106], s[14:15], v[123:124]
	v_fma_f64 v[119:120], v[105:106], s[14:15], -v[123:124]
	v_mul_f64 v[123:124], v[94:95], s[36:37]
	v_add_f64 v[111:112], v[125:126], v[111:112]
	v_mul_f64 v[125:126], v[139:140], s[14:15]
	v_add_f64 v[115:116], v[119:120], v[115:116]
	v_fma_f64 v[127:128], v[107:108], s[6:7], v[125:126]
	v_fma_f64 v[119:120], v[107:108], s[30:31], v[125:126]
	v_mul_f64 v[125:126], v[147:148], s[28:29]
	v_add_f64 v[113:114], v[127:128], v[113:114]
	v_mul_f64 v[127:128], v[137:138], s[34:35]
	v_add_f64 v[117:118], v[119:120], v[117:118]
	v_fma_f64 v[195:196], v[101:102], s[18:19], v[127:128]
	v_fma_f64 v[119:120], v[101:102], s[18:19], -v[127:128]
	v_mul_f64 v[127:128], v[145:146], s[38:39]
	v_add_f64 v[111:112], v[195:196], v[111:112]
	v_mul_f64 v[195:196], v[135:136], s[18:19]
	v_add_f64 v[115:116], v[119:120], v[115:116]
	v_fma_f64 v[119:120], v[98:99], s[28:29], v[123:124]
	v_fma_f64 v[129:130], v[109:110], s[16:17], v[127:128]
	v_fma_f64 v[123:124], v[98:99], s[28:29], -v[123:124]
	v_fma_f64 v[127:128], v[109:110], s[16:17], -v[127:128]
	v_fma_f64 v[121:122], v[103:104], s[34:35], v[195:196]
	v_fma_f64 v[197:198], v[103:104], s[24:25], v[195:196]
	v_add_f64 v[119:120], v[119:120], v[131:132]
	v_add_f64 v[123:124], v[123:124], v[165:166]
	;; [unrolled: 1-line block ×3, first 2 shown]
	v_fma_f64 v[121:122], v[92:93], s[26:27], v[125:126]
	v_add_f64 v[119:120], v[129:130], v[119:120]
	v_mul_f64 v[129:130], v[143:144], s[16:17]
	v_fma_f64 v[125:126], v[92:93], s[36:37], v[125:126]
	v_add_f64 v[123:124], v[127:128], v[123:124]
	v_add_f64 v[113:114], v[197:198], v[113:114]
	;; [unrolled: 1-line block ×3, first 2 shown]
	v_fma_f64 v[131:132], v[96:97], s[20:21], v[129:130]
	v_add_f64 v[125:126], v[125:126], v[153:154]
	v_fma_f64 v[127:128], v[96:97], s[38:39], v[129:130]
	v_add_f64 v[121:122], v[131:132], v[121:122]
	v_mul_f64 v[131:132], v[141:142], s[24:25]
	v_add_f64 v[125:126], v[127:128], v[125:126]
	v_fma_f64 v[151:152], v[105:106], s[18:19], v[131:132]
	v_fma_f64 v[127:128], v[105:106], s[18:19], -v[131:132]
	v_mul_f64 v[131:132], v[94:95], s[30:31]
	v_mul_f64 v[94:95], v[94:95], s[34:35]
	v_add_f64 v[119:120], v[151:152], v[119:120]
	v_mul_f64 v[151:152], v[139:140], s[18:19]
	v_add_f64 v[123:124], v[127:128], v[123:124]
	v_fma_f64 v[163:164], v[107:108], s[34:35], v[151:152]
	v_fma_f64 v[127:128], v[107:108], s[24:25], v[151:152]
	v_mul_f64 v[151:152], v[145:146], s[24:25]
	v_mul_f64 v[145:146], v[145:146], s[12:13]
	v_add_f64 v[121:122], v[163:164], v[121:122]
	v_mul_f64 v[163:164], v[137:138], s[12:13]
	v_add_f64 v[125:126], v[127:128], v[125:126]
	v_fma_f64 v[153:154], v[109:110], s[18:19], v[151:152]
	v_fma_f64 v[151:152], v[109:110], s[18:19], -v[151:152]
	v_fma_f64 v[195:196], v[101:102], s[22:23], v[163:164]
	v_fma_f64 v[127:128], v[101:102], s[22:23], -v[163:164]
	v_add_f64 v[119:120], v[195:196], v[119:120]
	v_mul_f64 v[195:196], v[135:136], s[22:23]
	v_add_f64 v[123:124], v[127:128], v[123:124]
	v_fma_f64 v[127:128], v[98:99], s[14:15], v[131:132]
	v_fma_f64 v[131:132], v[98:99], s[14:15], -v[131:132]
	v_fma_f64 v[129:130], v[103:104], s[12:13], v[195:196]
	v_fma_f64 v[197:198], v[103:104], s[8:9], v[195:196]
	v_add_f64 v[127:128], v[127:128], v[133:134]
	v_mul_f64 v[133:134], v[147:148], s[14:15]
	v_add_f64 v[131:132], v[131:132], v[173:174]
	v_mul_f64 v[147:148], v[147:148], s[18:19]
	v_add_f64 v[125:126], v[129:130], v[125:126]
	v_add_f64 v[121:122], v[197:198], v[121:122]
	;; [unrolled: 1-line block ×3, first 2 shown]
	v_fma_f64 v[129:130], v[92:93], s[6:7], v[133:134]
	v_mul_f64 v[153:154], v[143:144], s[18:19]
	v_fma_f64 v[133:134], v[92:93], s[30:31], v[133:134]
	v_add_f64 v[131:132], v[151:152], v[131:132]
	v_mul_f64 v[143:144], v[143:144], s[22:23]
	v_add_f64 v[129:130], v[129:130], v[167:168]
	v_fma_f64 v[163:164], v[96:97], s[34:35], v[153:154]
	v_add_f64 v[133:134], v[133:134], v[155:156]
	v_fma_f64 v[151:152], v[96:97], s[24:25], v[153:154]
	v_mul_f64 v[155:156], v[135:136], s[14:15]
	v_add_f64 v[129:130], v[163:164], v[129:130]
	v_mul_f64 v[163:164], v[141:142], s[26:27]
	v_add_f64 v[133:134], v[151:152], v[133:134]
	v_mul_f64 v[141:142], v[141:142], s[38:39]
	v_fma_f64 v[165:166], v[105:106], s[28:29], v[163:164]
	v_fma_f64 v[151:152], v[105:106], s[28:29], -v[163:164]
	v_add_f64 v[127:128], v[165:166], v[127:128]
	v_mul_f64 v[165:166], v[139:140], s[28:29]
	v_add_f64 v[131:132], v[151:152], v[131:132]
	v_mul_f64 v[139:140], v[139:140], s[16:17]
	v_fma_f64 v[167:168], v[107:108], s[36:37], v[165:166]
	v_fma_f64 v[151:152], v[107:108], s[26:27], v[165:166]
	v_add_f64 v[129:130], v[167:168], v[129:130]
	v_mul_f64 v[167:168], v[137:138], s[38:39]
	v_add_f64 v[133:134], v[151:152], v[133:134]
	v_fma_f64 v[195:196], v[101:102], s[16:17], v[167:168]
	v_fma_f64 v[151:152], v[101:102], s[16:17], -v[167:168]
	v_add_f64 v[127:128], v[195:196], v[127:128]
	v_mul_f64 v[195:196], v[135:136], s[16:17]
	v_add_f64 v[131:132], v[151:152], v[131:132]
	v_fma_f64 v[151:152], v[98:99], s[18:19], v[94:95]
	v_fma_f64 v[94:95], v[98:99], s[18:19], -v[94:95]
	v_fma_f64 v[153:154], v[103:104], s[38:39], v[195:196]
	v_fma_f64 v[197:198], v[103:104], s[20:21], v[195:196]
	v_add_f64 v[149:150], v[151:152], v[149:150]
	v_fma_f64 v[151:152], v[92:93], s[24:25], v[147:148]
	v_fma_f64 v[147:148], v[92:93], s[34:35], v[147:148]
	v_add_f64 v[94:95], v[94:95], v[175:176]
	v_fma_f64 v[92:93], v[92:93], s[20:21], v[181:182]
	v_add_f64 v[133:134], v[153:154], v[133:134]
	v_fma_f64 v[153:154], v[109:110], s[22:23], v[145:146]
	v_fma_f64 v[145:146], v[109:110], s[22:23], -v[145:146]
	v_add_f64 v[151:152], v[151:152], v[169:170]
	v_add_f64 v[147:148], v[147:148], v[177:178]
	;; [unrolled: 1-line block ×5, first 2 shown]
	v_fma_f64 v[153:154], v[96:97], s[8:9], v[143:144]
	v_fma_f64 v[143:144], v[96:97], s[12:13], v[143:144]
	v_add_f64 v[94:95], v[145:146], v[94:95]
	v_fma_f64 v[96:97], v[96:97], s[6:7], v[185:186]
	v_add_f64 v[151:152], v[153:154], v[151:152]
	;; [unrolled: 2-line block ×3, first 2 shown]
	v_fma_f64 v[141:142], v[105:106], s[16:17], -v[141:142]
	v_fma_f64 v[105:106], v[105:106], s[22:23], -v[187:188]
	v_add_f64 v[92:93], v[96:97], v[92:93]
	v_fma_f64 v[96:97], v[101:102], s[28:29], -v[191:192]
	v_add_f64 v[149:150], v[153:154], v[149:150]
	v_fma_f64 v[153:154], v[107:108], s[20:21], v[139:140]
	v_fma_f64 v[139:140], v[107:108], s[38:39], v[139:140]
	v_add_f64 v[94:95], v[141:142], v[94:95]
	v_fma_f64 v[107:108], v[107:108], s[12:13], v[189:190]
	v_add_f64 v[151:152], v[153:154], v[151:152]
	v_mul_f64 v[153:154], v[137:138], s[6:7]
	v_add_f64 v[141:142], v[139:140], v[143:144]
	v_fma_f64 v[137:138], v[103:104], s[30:31], v[155:156]
	v_fma_f64 v[143:144], v[103:104], s[6:7], v[155:156]
	v_fma_f64 v[139:140], v[101:102], s[14:15], -v[153:154]
	v_fma_f64 v[135:136], v[101:102], s[14:15], v[153:154]
	v_add_f64 v[101:102], v[107:108], v[92:93]
	v_add_f64 v[137:138], v[137:138], v[151:152]
	;; [unrolled: 1-line block ×4, first 2 shown]
	v_fma_f64 v[94:95], v[98:99], s[16:17], -v[179:180]
	v_fma_f64 v[98:99], v[109:110], s[14:15], -v[183:184]
	v_add_f64 v[135:136], v[135:136], v[149:150]
	v_add_f64 v[94:95], v[94:95], v[161:162]
	;; [unrolled: 1-line block ×3, first 2 shown]
	v_fma_f64 v[98:99], v[103:104], s[26:27], v[193:194]
	v_add_f64 v[94:95], v[105:106], v[94:95]
	v_add_f64 v[92:93], v[96:97], v[94:95]
	;; [unrolled: 1-line block ×3, first 2 shown]
	ds_write_b128 v160, v[84:87] offset:16
	ds_write_b128 v160, v[111:114] offset:32
	;; [unrolled: 1-line block ×10, first 2 shown]
	ds_write_b128 v160, v[88:91]
	s_waitcnt lgkmcnt(0)
	s_barrier
	buffer_gl0_inv
	ds_read_b128 v[84:87], v158 offset:176
	ds_read_b128 v[88:91], v158
	s_waitcnt lgkmcnt(1)
	v_mul_f64 v[92:93], v[50:51], v[86:87]
	v_mul_f64 v[50:51], v[50:51], v[84:85]
	v_fma_f64 v[92:93], v[48:49], v[84:85], v[92:93]
	v_fma_f64 v[94:95], v[48:49], v[86:87], -v[50:51]
	ds_read_b128 v[48:51], v158 offset:352
	ds_read_b128 v[84:87], v158 offset:528
	s_waitcnt lgkmcnt(1)
	v_mul_f64 v[96:97], v[46:47], v[50:51]
	v_mul_f64 v[46:47], v[46:47], v[48:49]
	v_fma_f64 v[96:97], v[44:45], v[48:49], v[96:97]
	v_fma_f64 v[98:99], v[44:45], v[50:51], -v[46:47]
	s_waitcnt lgkmcnt(0)
	v_mul_f64 v[44:45], v[66:67], v[86:87]
	v_fma_f64 v[101:102], v[64:65], v[84:85], v[44:45]
	v_mul_f64 v[44:45], v[66:67], v[84:85]
	v_fma_f64 v[84:85], v[64:65], v[86:87], -v[44:45]
	ds_read_b128 v[44:47], v158 offset:704
	ds_read_b128 v[48:51], v158 offset:880
	s_waitcnt lgkmcnt(1)
	v_mul_f64 v[64:65], v[54:55], v[46:47]
	v_fma_f64 v[86:87], v[52:53], v[44:45], v[64:65]
	v_mul_f64 v[44:45], v[54:55], v[44:45]
	v_fma_f64 v[103:104], v[52:53], v[46:47], -v[44:45]
	s_waitcnt lgkmcnt(0)
	v_mul_f64 v[44:45], v[70:71], v[50:51]
	v_fma_f64 v[105:106], v[68:69], v[48:49], v[44:45]
	v_mul_f64 v[44:45], v[70:71], v[48:49]
	v_fma_f64 v[107:108], v[68:69], v[50:51], -v[44:45]
	ds_read_b128 v[44:47], v158 offset:1056
	ds_read_b128 v[48:51], v158 offset:1232
	s_waitcnt lgkmcnt(1)
	v_mul_f64 v[52:53], v[58:59], v[46:47]
	v_fma_f64 v[109:110], v[56:57], v[44:45], v[52:53]
	v_mul_f64 v[44:45], v[58:59], v[44:45]
	v_add_f64 v[169:170], v[105:106], v[109:110]
	v_fma_f64 v[111:112], v[56:57], v[46:47], -v[44:45]
	s_waitcnt lgkmcnt(0)
	v_mul_f64 v[44:45], v[78:79], v[50:51]
	v_add_f64 v[173:174], v[105:106], -v[109:110]
	v_add_f64 v[167:168], v[107:108], -v[111:112]
	v_fma_f64 v[113:114], v[76:77], v[48:49], v[44:45]
	v_mul_f64 v[44:45], v[78:79], v[48:49]
	v_add_f64 v[171:172], v[107:108], v[111:112]
	v_add_f64 v[161:162], v[86:87], v[113:114]
	v_fma_f64 v[115:116], v[76:77], v[50:51], -v[44:45]
	ds_read_b128 v[44:47], v158 offset:1408
	ds_read_b128 v[48:51], v158 offset:1584
	v_add_f64 v[165:166], v[86:87], -v[113:114]
	s_waitcnt lgkmcnt(1)
	v_mul_f64 v[52:53], v[62:63], v[46:47]
	v_add_f64 v[159:160], v[103:104], -v[115:116]
	v_add_f64 v[163:164], v[103:104], v[115:116]
	v_fma_f64 v[117:118], v[60:61], v[44:45], v[52:53]
	v_mul_f64 v[44:45], v[62:63], v[44:45]
	v_add_f64 v[151:152], v[101:102], v[117:118]
	v_fma_f64 v[119:120], v[60:61], v[46:47], -v[44:45]
	s_waitcnt lgkmcnt(0)
	v_mul_f64 v[44:45], v[82:83], v[50:51]
	v_add_f64 v[155:156], v[101:102], -v[117:118]
	v_add_f64 v[149:150], v[84:85], -v[119:120]
	v_fma_f64 v[121:122], v[80:81], v[48:49], v[44:45]
	v_mul_f64 v[44:45], v[82:83], v[48:49]
	v_add_f64 v[153:154], v[84:85], v[119:120]
	v_add_f64 v[143:144], v[96:97], v[121:122]
	v_fma_f64 v[123:124], v[80:81], v[50:51], -v[44:45]
	ds_read_b128 v[44:47], v158 offset:1760
	v_add_f64 v[147:148], v[96:97], -v[121:122]
	s_waitcnt lgkmcnt(0)
	v_mul_f64 v[48:49], v[74:75], v[44:45]
	v_add_f64 v[141:142], v[98:99], -v[123:124]
	v_add_f64 v[145:146], v[98:99], v[123:124]
	v_fma_f64 v[125:126], v[72:73], v[46:47], -v[48:49]
	v_mul_f64 v[46:47], v[74:75], v[46:47]
	v_fma_f64 v[127:128], v[72:73], v[44:45], v[46:47]
	v_add_f64 v[44:45], v[94:95], -v[125:126]
	v_add_f64 v[54:55], v[92:93], v[127:128]
	v_mul_f64 v[46:47], v[44:45], s[24:25]
	v_mul_f64 v[48:49], v[44:45], s[20:21]
	;; [unrolled: 1-line block ×5, first 2 shown]
	v_add_f64 v[74:75], v[92:93], -v[127:128]
	v_add_f64 v[92:93], v[88:89], v[92:93]
	v_fma_f64 v[56:57], v[54:55], s[18:19], v[46:47]
	v_fma_f64 v[46:47], v[54:55], s[18:19], -v[46:47]
	v_fma_f64 v[58:59], v[54:55], s[16:17], v[48:49]
	v_fma_f64 v[48:49], v[54:55], s[16:17], -v[48:49]
	;; [unrolled: 2-line block ×5, first 2 shown]
	v_add_f64 v[54:55], v[94:95], v[125:126]
	v_add_f64 v[94:95], v[90:91], v[94:95]
	;; [unrolled: 1-line block ×5, first 2 shown]
	v_mul_f64 v[48:49], v[141:142], s[20:21]
	v_add_f64 v[60:61], v[88:89], v[60:61]
	v_add_f64 v[133:134], v[88:89], v[50:51]
	;; [unrolled: 1-line block ×5, first 2 shown]
	v_mul_f64 v[66:67], v[54:55], s[18:19]
	v_mul_f64 v[68:69], v[54:55], s[16:17]
	;; [unrolled: 1-line block ×7, first 2 shown]
	v_fma_f64 v[76:77], v[74:75], s[34:35], v[66:67]
	v_fma_f64 v[66:67], v[74:75], s[24:25], v[66:67]
	;; [unrolled: 1-line block ×10, first 2 shown]
	v_add_f64 v[74:75], v[90:91], v[76:77]
	v_add_f64 v[76:77], v[88:89], v[46:47]
	;; [unrolled: 1-line block ×3, first 2 shown]
	v_fma_f64 v[44:45], v[143:144], s[16:17], v[48:49]
	v_add_f64 v[66:67], v[90:91], v[66:67]
	v_add_f64 v[78:79], v[90:91], v[78:79]
	;; [unrolled: 1-line block ×9, first 2 shown]
	v_fma_f64 v[54:55], v[151:152], s[14:15], v[52:53]
	v_fma_f64 v[46:47], v[147:148], s[38:39], v[50:51]
	v_fma_f64 v[48:49], v[143:144], s[16:17], -v[48:49]
	v_fma_f64 v[50:51], v[147:148], s[20:21], v[50:51]
	v_fma_f64 v[52:53], v[151:152], s[14:15], -v[52:53]
	v_add_f64 v[44:45], v[44:45], v[56:57]
	v_add_f64 v[46:47], v[46:47], v[74:75]
	;; [unrolled: 1-line block ×5, first 2 shown]
	v_mul_f64 v[54:55], v[153:154], s[14:15]
	v_add_f64 v[48:49], v[52:53], v[48:49]
	v_fma_f64 v[56:57], v[155:156], s[30:31], v[54:55]
	v_fma_f64 v[52:53], v[155:156], s[6:7], v[54:55]
	v_add_f64 v[46:47], v[56:57], v[46:47]
	v_mul_f64 v[56:57], v[159:160], s[12:13]
	v_add_f64 v[50:51], v[52:53], v[50:51]
	v_fma_f64 v[62:63], v[161:162], s[22:23], v[56:57]
	v_fma_f64 v[52:53], v[161:162], s[22:23], -v[56:57]
	v_mul_f64 v[56:57], v[141:142], s[12:13]
	v_add_f64 v[44:45], v[62:63], v[44:45]
	v_mul_f64 v[62:63], v[163:164], s[22:23]
	v_add_f64 v[48:49], v[52:53], v[48:49]
	v_fma_f64 v[64:65], v[165:166], s[8:9], v[62:63]
	v_fma_f64 v[52:53], v[165:166], s[12:13], v[62:63]
	v_mul_f64 v[62:63], v[149:150], s[36:37]
	v_add_f64 v[46:47], v[64:65], v[46:47]
	v_mul_f64 v[64:65], v[167:168], s[26:27]
	v_add_f64 v[50:51], v[52:53], v[50:51]
	v_fma_f64 v[74:75], v[169:170], s[28:29], v[64:65]
	v_fma_f64 v[52:53], v[169:170], s[28:29], -v[64:65]
	v_fma_f64 v[64:65], v[151:152], s[28:29], v[62:63]
	v_fma_f64 v[62:63], v[151:152], s[28:29], -v[62:63]
	v_add_f64 v[44:45], v[74:75], v[44:45]
	v_mul_f64 v[74:75], v[171:172], s[28:29]
	v_add_f64 v[48:49], v[52:53], v[48:49]
	v_fma_f64 v[52:53], v[143:144], s[22:23], v[56:57]
	v_fma_f64 v[56:57], v[143:144], s[22:23], -v[56:57]
	v_fma_f64 v[54:55], v[173:174], s[26:27], v[74:75]
	v_fma_f64 v[175:176], v[173:174], s[36:37], v[74:75]
	v_add_f64 v[52:53], v[52:53], v[58:59]
	v_mul_f64 v[58:59], v[145:146], s[22:23]
	v_add_f64 v[56:57], v[56:57], v[131:132]
	v_add_f64 v[50:51], v[54:55], v[50:51]
	;; [unrolled: 1-line block ×4, first 2 shown]
	v_fma_f64 v[54:55], v[147:148], s[8:9], v[58:59]
	v_mul_f64 v[64:65], v[153:154], s[28:29]
	v_fma_f64 v[58:59], v[147:148], s[12:13], v[58:59]
	v_add_f64 v[56:57], v[62:63], v[56:57]
	v_add_f64 v[54:55], v[54:55], v[78:79]
	v_fma_f64 v[66:67], v[155:156], s[26:27], v[64:65]
	v_add_f64 v[58:59], v[58:59], v[68:69]
	v_fma_f64 v[62:63], v[155:156], s[36:37], v[64:65]
	v_mul_f64 v[68:69], v[149:150], s[38:39]
	v_add_f64 v[54:55], v[66:67], v[54:55]
	v_mul_f64 v[66:67], v[159:160], s[30:31]
	v_add_f64 v[58:59], v[62:63], v[58:59]
	v_fma_f64 v[74:75], v[161:162], s[14:15], v[66:67]
	v_fma_f64 v[62:63], v[161:162], s[14:15], -v[66:67]
	v_mul_f64 v[66:67], v[145:146], s[28:29]
	v_add_f64 v[52:53], v[74:75], v[52:53]
	v_mul_f64 v[74:75], v[163:164], s[14:15]
	v_add_f64 v[56:57], v[62:63], v[56:57]
	v_fma_f64 v[76:77], v[165:166], s[6:7], v[74:75]
	v_fma_f64 v[62:63], v[165:166], s[30:31], v[74:75]
	;; [unrolled: 1-line block ×3, first 2 shown]
	v_fma_f64 v[68:69], v[151:152], s[16:17], -v[68:69]
	v_add_f64 v[54:55], v[76:77], v[54:55]
	v_mul_f64 v[76:77], v[167:168], s[34:35]
	v_add_f64 v[58:59], v[62:63], v[58:59]
	v_fma_f64 v[78:79], v[169:170], s[18:19], v[76:77]
	v_fma_f64 v[62:63], v[169:170], s[18:19], -v[76:77]
	v_add_f64 v[52:53], v[78:79], v[52:53]
	v_mul_f64 v[78:79], v[171:172], s[18:19]
	v_add_f64 v[56:57], v[62:63], v[56:57]
	v_fma_f64 v[64:65], v[173:174], s[34:35], v[78:79]
	v_fma_f64 v[175:176], v[173:174], s[24:25], v[78:79]
	v_add_f64 v[58:59], v[64:65], v[58:59]
	v_mul_f64 v[64:65], v[141:142], s[36:37]
	v_add_f64 v[54:55], v[175:176], v[54:55]
	v_fma_f64 v[62:63], v[143:144], s[28:29], v[64:65]
	v_fma_f64 v[64:65], v[143:144], s[28:29], -v[64:65]
	v_add_f64 v[60:61], v[62:63], v[60:61]
	v_fma_f64 v[62:63], v[147:148], s[26:27], v[66:67]
	v_add_f64 v[64:65], v[64:65], v[133:134]
	v_fma_f64 v[66:67], v[147:148], s[36:37], v[66:67]
	v_add_f64 v[60:61], v[74:75], v[60:61]
	v_mul_f64 v[74:75], v[153:154], s[16:17]
	v_add_f64 v[62:63], v[62:63], v[80:81]
	v_add_f64 v[66:67], v[66:67], v[70:71]
	;; [unrolled: 1-line block ×3, first 2 shown]
	v_fma_f64 v[76:77], v[155:156], s[20:21], v[74:75]
	v_fma_f64 v[68:69], v[155:156], s[38:39], v[74:75]
	v_mul_f64 v[74:75], v[141:142], s[30:31]
	v_add_f64 v[62:63], v[76:77], v[62:63]
	v_mul_f64 v[76:77], v[159:160], s[24:25]
	v_add_f64 v[66:67], v[68:69], v[66:67]
	v_fma_f64 v[78:79], v[161:162], s[18:19], v[76:77]
	v_fma_f64 v[68:69], v[161:162], s[18:19], -v[76:77]
	v_mul_f64 v[76:77], v[145:146], s[14:15]
	v_add_f64 v[60:61], v[78:79], v[60:61]
	v_mul_f64 v[78:79], v[163:164], s[18:19]
	v_add_f64 v[64:65], v[68:69], v[64:65]
	v_fma_f64 v[80:81], v[165:166], s[34:35], v[78:79]
	v_fma_f64 v[68:69], v[165:166], s[24:25], v[78:79]
	v_mul_f64 v[78:79], v[149:150], s[24:25]
	v_add_f64 v[62:63], v[80:81], v[62:63]
	v_mul_f64 v[80:81], v[167:168], s[12:13]
	v_add_f64 v[66:67], v[68:69], v[66:67]
	v_fma_f64 v[131:132], v[169:170], s[22:23], v[80:81]
	v_fma_f64 v[68:69], v[169:170], s[22:23], -v[80:81]
	v_fma_f64 v[80:81], v[151:152], s[18:19], v[78:79]
	v_add_f64 v[60:61], v[131:132], v[60:61]
	v_mul_f64 v[131:132], v[171:172], s[22:23]
	v_add_f64 v[64:65], v[68:69], v[64:65]
	v_fma_f64 v[68:69], v[143:144], s[14:15], v[74:75]
	v_fma_f64 v[74:75], v[143:144], s[14:15], -v[74:75]
	v_fma_f64 v[70:71], v[173:174], s[12:13], v[131:132]
	v_fma_f64 v[175:176], v[173:174], s[8:9], v[131:132]
	v_add_f64 v[68:69], v[68:69], v[135:136]
	v_add_f64 v[74:75], v[74:75], v[137:138]
	;; [unrolled: 1-line block ×3, first 2 shown]
	v_fma_f64 v[70:71], v[147:148], s[6:7], v[76:77]
	v_add_f64 v[68:69], v[80:81], v[68:69]
	v_mul_f64 v[80:81], v[153:154], s[18:19]
	v_fma_f64 v[76:77], v[147:148], s[30:31], v[76:77]
	v_add_f64 v[62:63], v[175:176], v[62:63]
	v_add_f64 v[70:71], v[70:71], v[82:83]
	v_fma_f64 v[82:83], v[155:156], s[34:35], v[80:81]
	v_add_f64 v[72:73], v[76:77], v[72:73]
	v_fma_f64 v[76:77], v[151:152], s[18:19], -v[78:79]
	v_add_f64 v[70:71], v[82:83], v[70:71]
	v_mul_f64 v[82:83], v[159:160], s[26:27]
	v_add_f64 v[74:75], v[76:77], v[74:75]
	v_fma_f64 v[76:77], v[155:156], s[24:25], v[80:81]
	v_mul_f64 v[80:81], v[141:142], s[34:35]
	v_fma_f64 v[131:132], v[161:162], s[28:29], v[82:83]
	v_add_f64 v[72:73], v[76:77], v[72:73]
	v_fma_f64 v[76:77], v[161:162], s[28:29], -v[82:83]
	v_mul_f64 v[82:83], v[145:146], s[18:19]
	v_add_f64 v[68:69], v[131:132], v[68:69]
	v_mul_f64 v[131:132], v[163:164], s[28:29]
	v_add_f64 v[74:75], v[76:77], v[74:75]
	v_fma_f64 v[133:134], v[165:166], s[36:37], v[131:132]
	v_fma_f64 v[76:77], v[165:166], s[26:27], v[131:132]
	v_add_f64 v[70:71], v[133:134], v[70:71]
	v_mul_f64 v[133:134], v[167:168], s[38:39]
	v_add_f64 v[76:77], v[76:77], v[72:73]
	v_fma_f64 v[135:136], v[169:170], s[16:17], v[133:134]
	v_fma_f64 v[72:73], v[169:170], s[16:17], -v[133:134]
	v_add_f64 v[68:69], v[135:136], v[68:69]
	v_mul_f64 v[135:136], v[171:172], s[16:17]
	v_add_f64 v[72:73], v[72:73], v[74:75]
	v_fma_f64 v[78:79], v[173:174], s[38:39], v[135:136]
	v_fma_f64 v[175:176], v[173:174], s[20:21], v[135:136]
	v_add_f64 v[74:75], v[78:79], v[76:77]
	v_fma_f64 v[78:79], v[147:148], s[24:25], v[82:83]
	v_fma_f64 v[76:77], v[143:144], s[18:19], v[80:81]
	v_fma_f64 v[80:81], v[143:144], s[18:19], -v[80:81]
	v_fma_f64 v[82:83], v[147:148], s[34:35], v[82:83]
	v_add_f64 v[70:71], v[175:176], v[70:71]
	v_add_f64 v[78:79], v[78:79], v[129:130]
	v_mul_f64 v[129:130], v[149:150], s[12:13]
	v_add_f64 v[76:77], v[76:77], v[139:140]
	v_add_f64 v[80:81], v[80:81], v[88:89]
	;; [unrolled: 1-line block ×3, first 2 shown]
	v_mul_f64 v[139:140], v[171:172], s[14:15]
	v_fma_f64 v[131:132], v[151:152], s[22:23], v[129:130]
	v_fma_f64 v[129:130], v[151:152], s[22:23], -v[129:130]
	v_add_f64 v[76:77], v[131:132], v[76:77]
	v_mul_f64 v[131:132], v[153:154], s[22:23]
	v_add_f64 v[80:81], v[129:130], v[80:81]
	v_fma_f64 v[133:134], v[155:156], s[8:9], v[131:132]
	v_fma_f64 v[131:132], v[155:156], s[12:13], v[131:132]
	v_add_f64 v[78:79], v[133:134], v[78:79]
	v_mul_f64 v[133:134], v[159:160], s[38:39]
	v_add_f64 v[82:83], v[131:132], v[82:83]
	v_fma_f64 v[131:132], v[173:174], s[6:7], v[139:140]
	v_fma_f64 v[135:136], v[161:162], s[16:17], v[133:134]
	v_fma_f64 v[88:89], v[161:162], s[16:17], -v[133:134]
	v_add_f64 v[76:77], v[135:136], v[76:77]
	v_mul_f64 v[135:136], v[163:164], s[16:17]
	v_add_f64 v[80:81], v[88:89], v[80:81]
	v_add_f64 v[88:89], v[92:93], v[96:97]
	v_fma_f64 v[90:91], v[165:166], s[38:39], v[135:136]
	v_fma_f64 v[137:138], v[165:166], s[20:21], v[135:136]
	v_add_f64 v[88:89], v[88:89], v[101:102]
	v_add_f64 v[82:83], v[90:91], v[82:83]
	v_add_f64 v[90:91], v[94:95], v[98:99]
	v_add_f64 v[86:87], v[88:89], v[86:87]
	v_add_f64 v[78:79], v[137:138], v[78:79]
	v_mul_f64 v[137:138], v[167:168], s[6:7]
	v_add_f64 v[82:83], v[131:132], v[82:83]
	v_add_f64 v[84:85], v[90:91], v[84:85]
	;; [unrolled: 1-line block ×3, first 2 shown]
	v_fma_f64 v[141:142], v[169:170], s[14:15], v[137:138]
	v_fma_f64 v[129:130], v[169:170], s[14:15], -v[137:138]
	v_add_f64 v[84:85], v[84:85], v[103:104]
	v_add_f64 v[86:87], v[86:87], v[109:110]
	;; [unrolled: 1-line block ×3, first 2 shown]
	v_fma_f64 v[141:142], v[173:174], s[30:31], v[139:140]
	v_add_f64 v[80:81], v[129:130], v[80:81]
	v_add_f64 v[84:85], v[84:85], v[107:108]
	;; [unrolled: 1-line block ×12, first 2 shown]
	ds_write_b128 v158, v[44:47] offset:176
	ds_write_b128 v158, v[52:55] offset:352
	ds_write_b128 v158, v[60:63] offset:528
	ds_write_b128 v158, v[68:71] offset:704
	ds_write_b128 v158, v[76:79] offset:880
	ds_write_b128 v158, v[80:83] offset:1056
	ds_write_b128 v158, v[72:75] offset:1232
	ds_write_b128 v158, v[64:67] offset:1408
	ds_write_b128 v158, v[56:59] offset:1584
	ds_write_b128 v158, v[48:51] offset:1760
	ds_write_b128 v158, v[84:87]
	s_waitcnt lgkmcnt(0)
	s_barrier
	buffer_gl0_inv
	ds_read_b128 v[44:47], v158
	ds_read_b128 v[48:51], v158 offset:176
	s_waitcnt lgkmcnt(1)
	v_mul_f64 v[52:53], v[42:43], v[46:47]
	v_mul_f64 v[54:55], v[42:43], v[44:45]
	v_fma_f64 v[42:43], v[40:41], v[44:45], v[52:53]
	s_waitcnt lgkmcnt(0)
	v_mul_f64 v[52:53], v[18:19], v[50:51]
	v_mul_f64 v[18:19], v[18:19], v[48:49]
	v_fma_f64 v[40:41], v[40:41], v[46:47], -v[54:55]
	ds_read_b128 v[44:47], v158 offset:352
	v_fma_f64 v[48:49], v[16:17], v[48:49], v[52:53]
	v_fma_f64 v[50:51], v[16:17], v[50:51], -v[18:19]
	ds_read_b128 v[16:19], v158 offset:528
	s_waitcnt lgkmcnt(1)
	v_mul_f64 v[52:53], v[34:35], v[46:47]
	v_mul_f64 v[34:35], v[34:35], v[44:45]
	v_fma_f64 v[44:45], v[32:33], v[44:45], v[52:53]
	s_waitcnt lgkmcnt(0)
	v_mul_f64 v[52:53], v[10:11], v[18:19]
	v_mul_f64 v[10:11], v[10:11], v[16:17]
	v_fma_f64 v[46:47], v[32:33], v[46:47], -v[34:35]
	ds_read_b128 v[32:35], v158 offset:704
	v_fma_f64 v[16:17], v[8:9], v[16:17], v[52:53]
	v_fma_f64 v[18:19], v[8:9], v[18:19], -v[10:11]
	;; [unrolled: 12-line block ×3, first 2 shown]
	ds_read_b128 v[8:11], v158 offset:1232
	s_waitcnt lgkmcnt(1)
	v_mul_f64 v[20:21], v[26:27], v[14:15]
	v_mul_f64 v[26:27], v[26:27], v[12:13]
	v_fma_f64 v[54:55], v[24:25], v[12:13], v[20:21]
	v_fma_f64 v[26:27], v[24:25], v[14:15], -v[26:27]
	s_waitcnt lgkmcnt(0)
	v_mul_f64 v[20:21], v[30:31], v[10:11]
	v_mul_f64 v[24:25], v[30:31], v[8:9]
	ds_read_b128 v[12:15], v158 offset:1408
	v_fma_f64 v[30:31], v[28:29], v[8:9], v[20:21]
	v_fma_f64 v[56:57], v[28:29], v[10:11], -v[24:25]
	ds_read_b128 v[8:11], v158 offset:1584
	s_waitcnt lgkmcnt(1)
	v_mul_f64 v[20:21], v[38:39], v[14:15]
	v_mul_f64 v[24:25], v[38:39], v[12:13]
	v_fma_f64 v[38:39], v[36:37], v[12:13], v[20:21]
	v_mad_u64_u32 v[12:13], null, s2, v100, 0
	v_mad_u64_u32 v[20:21], null, s0, v157, 0
	v_fma_f64 v[36:37], v[36:37], v[14:15], -v[24:25]
	s_waitcnt lgkmcnt(0)
	v_mul_f64 v[24:25], v[2:3], v[10:11]
	v_mul_f64 v[2:3], v[2:3], v[8:9]
	s_mul_hi_u32 s2, s0, 0xb0
	v_mad_u64_u32 v[13:14], null, s3, v100, v[13:14]
	v_mov_b32_e32 v14, v21
	s_mul_i32 s3, s0, 0xb0
	v_mad_u64_u32 v[14:15], null, s1, v157, v[14:15]
	v_lshlrev_b64 v[12:13], 4, v[12:13]
	s_mulk_i32 s1, 0xb0
	s_add_i32 s2, s2, s1
	s_mov_b32 s0, 0x6be69c90
	s_mov_b32 s1, 0x3f80ecf5
	v_add_co_u32 v28, vcc_lo, s4, v12
	v_mov_b32_e32 v21, v14
	v_add_co_ci_u32_e32 v29, vcc_lo, s5, v13, vcc_lo
	ds_read_b128 v[12:15], v158 offset:1760
	v_fma_f64 v[58:59], v[0:1], v[8:9], v[24:25]
	v_lshlrev_b64 v[20:21], 4, v[20:21]
	v_fma_f64 v[60:61], v[0:1], v[10:11], -v[2:3]
	v_mul_f64 v[8:9], v[44:45], s[0:1]
	v_mul_f64 v[10:11], v[46:47], s[0:1]
	;; [unrolled: 1-line block ×4, first 2 shown]
	v_add_co_u32 v62, vcc_lo, v28, v20
	v_add_co_ci_u32_e32 v63, vcc_lo, v29, v21, vcc_lo
	v_mul_f64 v[20:21], v[52:53], s[0:1]
	v_add_co_u32 v64, vcc_lo, v62, s3
	v_add_co_ci_u32_e32 v65, vcc_lo, s2, v63, vcc_lo
	v_mul_f64 v[26:27], v[26:27], s[0:1]
	v_add_co_u32 v66, vcc_lo, v64, s3
	s_waitcnt lgkmcnt(0)
	v_mul_f64 v[0:1], v[6:7], v[14:15]
	v_mul_f64 v[2:3], v[6:7], v[12:13]
	v_add_co_ci_u32_e32 v67, vcc_lo, s2, v65, vcc_lo
	v_add_co_u32 v68, vcc_lo, v66, s3
	v_mul_f64 v[6:7], v[50:51], s[0:1]
	v_add_co_ci_u32_e32 v69, vcc_lo, s2, v67, vcc_lo
	v_add_co_u32 v74, vcc_lo, v68, s3
	v_mul_f64 v[28:29], v[30:31], s[0:1]
	v_add_co_ci_u32_e32 v75, vcc_lo, s2, v69, vcc_lo
	v_add_co_u32 v76, vcc_lo, v74, s3
	v_mul_f64 v[30:31], v[56:57], s[0:1]
	v_add_co_ci_u32_e32 v77, vcc_lo, s2, v75, vcc_lo
	v_add_co_u32 v78, vcc_lo, v76, s3
	v_fma_f64 v[70:71], v[4:5], v[12:13], v[0:1]
	v_fma_f64 v[72:73], v[4:5], v[14:15], -v[2:3]
	v_mul_f64 v[0:1], v[42:43], s[0:1]
	v_mul_f64 v[2:3], v[40:41], s[0:1]
	;; [unrolled: 1-line block ×3, first 2 shown]
	v_add_co_ci_u32_e32 v79, vcc_lo, s2, v77, vcc_lo
	v_mul_f64 v[12:13], v[16:17], s[0:1]
	v_mul_f64 v[14:15], v[18:19], s[0:1]
	;; [unrolled: 1-line block ×4, first 2 shown]
	v_add_co_u32 v44, vcc_lo, v78, s3
	v_mul_f64 v[32:33], v[38:39], s[0:1]
	v_mul_f64 v[34:35], v[36:37], s[0:1]
	v_add_co_ci_u32_e32 v45, vcc_lo, s2, v79, vcc_lo
	v_mul_f64 v[36:37], v[58:59], s[0:1]
	v_mul_f64 v[38:39], v[60:61], s[0:1]
	;; [unrolled: 1-line block ×4, first 2 shown]
	global_store_dwordx4 v[62:63], v[0:3], off
	v_add_co_u32 v0, vcc_lo, v44, s3
	v_add_co_ci_u32_e32 v1, vcc_lo, s2, v45, vcc_lo
	v_add_co_u32 v2, vcc_lo, v0, s3
	v_add_co_ci_u32_e32 v3, vcc_lo, s2, v1, vcc_lo
	;; [unrolled: 2-line block ×3, first 2 shown]
	global_store_dwordx4 v[64:65], v[4:7], off
	global_store_dwordx4 v[66:67], v[8:11], off
	global_store_dwordx4 v[68:69], v[12:15], off
	global_store_dwordx4 v[74:75], v[16:19], off
	global_store_dwordx4 v[76:77], v[20:23], off
	global_store_dwordx4 v[78:79], v[24:27], off
	global_store_dwordx4 v[44:45], v[28:31], off
	global_store_dwordx4 v[0:1], v[32:35], off
	global_store_dwordx4 v[2:3], v[36:39], off
	global_store_dwordx4 v[46:47], v[40:43], off
.LBB0_2:
	s_endpgm
	.section	.rodata,"a",@progbits
	.p2align	6, 0x0
	.amdhsa_kernel bluestein_single_fwd_len121_dim1_dp_op_CI_CI
		.amdhsa_group_segment_fixed_size 21296
		.amdhsa_private_segment_fixed_size 0
		.amdhsa_kernarg_size 104
		.amdhsa_user_sgpr_count 6
		.amdhsa_user_sgpr_private_segment_buffer 1
		.amdhsa_user_sgpr_dispatch_ptr 0
		.amdhsa_user_sgpr_queue_ptr 0
		.amdhsa_user_sgpr_kernarg_segment_ptr 1
		.amdhsa_user_sgpr_dispatch_id 0
		.amdhsa_user_sgpr_flat_scratch_init 0
		.amdhsa_user_sgpr_private_segment_size 0
		.amdhsa_wavefront_size32 1
		.amdhsa_uses_dynamic_stack 0
		.amdhsa_system_sgpr_private_segment_wavefront_offset 0
		.amdhsa_system_sgpr_workgroup_id_x 1
		.amdhsa_system_sgpr_workgroup_id_y 0
		.amdhsa_system_sgpr_workgroup_id_z 0
		.amdhsa_system_sgpr_workgroup_info 0
		.amdhsa_system_vgpr_workitem_id 0
		.amdhsa_next_free_vgpr 219
		.amdhsa_next_free_sgpr 42
		.amdhsa_reserve_vcc 1
		.amdhsa_reserve_flat_scratch 0
		.amdhsa_float_round_mode_32 0
		.amdhsa_float_round_mode_16_64 0
		.amdhsa_float_denorm_mode_32 3
		.amdhsa_float_denorm_mode_16_64 3
		.amdhsa_dx10_clamp 1
		.amdhsa_ieee_mode 1
		.amdhsa_fp16_overflow 0
		.amdhsa_workgroup_processor_mode 1
		.amdhsa_memory_ordered 1
		.amdhsa_forward_progress 0
		.amdhsa_shared_vgpr_count 0
		.amdhsa_exception_fp_ieee_invalid_op 0
		.amdhsa_exception_fp_denorm_src 0
		.amdhsa_exception_fp_ieee_div_zero 0
		.amdhsa_exception_fp_ieee_overflow 0
		.amdhsa_exception_fp_ieee_underflow 0
		.amdhsa_exception_fp_ieee_inexact 0
		.amdhsa_exception_int_div_zero 0
	.end_amdhsa_kernel
	.text
.Lfunc_end0:
	.size	bluestein_single_fwd_len121_dim1_dp_op_CI_CI, .Lfunc_end0-bluestein_single_fwd_len121_dim1_dp_op_CI_CI
                                        ; -- End function
	.section	.AMDGPU.csdata,"",@progbits
; Kernel info:
; codeLenInByte = 14020
; NumSgprs: 44
; NumVgprs: 219
; ScratchSize: 0
; MemoryBound: 0
; FloatMode: 240
; IeeeMode: 1
; LDSByteSize: 21296 bytes/workgroup (compile time only)
; SGPRBlocks: 5
; VGPRBlocks: 27
; NumSGPRsForWavesPerEU: 44
; NumVGPRsForWavesPerEU: 219
; Occupancy: 4
; WaveLimiterHint : 1
; COMPUTE_PGM_RSRC2:SCRATCH_EN: 0
; COMPUTE_PGM_RSRC2:USER_SGPR: 6
; COMPUTE_PGM_RSRC2:TRAP_HANDLER: 0
; COMPUTE_PGM_RSRC2:TGID_X_EN: 1
; COMPUTE_PGM_RSRC2:TGID_Y_EN: 0
; COMPUTE_PGM_RSRC2:TGID_Z_EN: 0
; COMPUTE_PGM_RSRC2:TIDIG_COMP_CNT: 0
	.text
	.p2alignl 6, 3214868480
	.fill 48, 4, 3214868480
	.type	__hip_cuid_7b4d3c2f97ccbe06,@object ; @__hip_cuid_7b4d3c2f97ccbe06
	.section	.bss,"aw",@nobits
	.globl	__hip_cuid_7b4d3c2f97ccbe06
__hip_cuid_7b4d3c2f97ccbe06:
	.byte	0                               ; 0x0
	.size	__hip_cuid_7b4d3c2f97ccbe06, 1

	.ident	"AMD clang version 19.0.0git (https://github.com/RadeonOpenCompute/llvm-project roc-6.4.0 25133 c7fe45cf4b819c5991fe208aaa96edf142730f1d)"
	.section	".note.GNU-stack","",@progbits
	.addrsig
	.addrsig_sym __hip_cuid_7b4d3c2f97ccbe06
	.amdgpu_metadata
---
amdhsa.kernels:
  - .args:
      - .actual_access:  read_only
        .address_space:  global
        .offset:         0
        .size:           8
        .value_kind:     global_buffer
      - .actual_access:  read_only
        .address_space:  global
        .offset:         8
        .size:           8
        .value_kind:     global_buffer
      - .actual_access:  read_only
        .address_space:  global
        .offset:         16
        .size:           8
        .value_kind:     global_buffer
      - .actual_access:  read_only
        .address_space:  global
        .offset:         24
        .size:           8
        .value_kind:     global_buffer
      - .actual_access:  read_only
        .address_space:  global
        .offset:         32
        .size:           8
        .value_kind:     global_buffer
      - .offset:         40
        .size:           8
        .value_kind:     by_value
      - .address_space:  global
        .offset:         48
        .size:           8
        .value_kind:     global_buffer
      - .address_space:  global
        .offset:         56
        .size:           8
        .value_kind:     global_buffer
      - .address_space:  global
        .offset:         64
        .size:           8
        .value_kind:     global_buffer
      - .address_space:  global
        .offset:         72
        .size:           8
        .value_kind:     global_buffer
      - .offset:         80
        .size:           4
        .value_kind:     by_value
      - .address_space:  global
        .offset:         88
        .size:           8
        .value_kind:     global_buffer
      - .address_space:  global
        .offset:         96
        .size:           8
        .value_kind:     global_buffer
    .group_segment_fixed_size: 21296
    .kernarg_segment_align: 8
    .kernarg_segment_size: 104
    .language:       OpenCL C
    .language_version:
      - 2
      - 0
    .max_flat_workgroup_size: 121
    .name:           bluestein_single_fwd_len121_dim1_dp_op_CI_CI
    .private_segment_fixed_size: 0
    .sgpr_count:     44
    .sgpr_spill_count: 0
    .symbol:         bluestein_single_fwd_len121_dim1_dp_op_CI_CI.kd
    .uniform_work_group_size: 1
    .uses_dynamic_stack: false
    .vgpr_count:     219
    .vgpr_spill_count: 0
    .wavefront_size: 32
    .workgroup_processor_mode: 1
amdhsa.target:   amdgcn-amd-amdhsa--gfx1030
amdhsa.version:
  - 1
  - 2
...

	.end_amdgpu_metadata
